;; amdgpu-corpus repo=ROCm/rocFFT kind=compiled arch=gfx906 opt=O3
	.text
	.amdgcn_target "amdgcn-amd-amdhsa--gfx906"
	.amdhsa_code_object_version 6
	.protected	fft_rtc_fwd_len2025_factors_3_3_5_5_3_3_wgs_135_tpt_135_halfLds_dp_ip_CI_unitstride_sbrr_dirReg ; -- Begin function fft_rtc_fwd_len2025_factors_3_3_5_5_3_3_wgs_135_tpt_135_halfLds_dp_ip_CI_unitstride_sbrr_dirReg
	.globl	fft_rtc_fwd_len2025_factors_3_3_5_5_3_3_wgs_135_tpt_135_halfLds_dp_ip_CI_unitstride_sbrr_dirReg
	.p2align	8
	.type	fft_rtc_fwd_len2025_factors_3_3_5_5_3_3_wgs_135_tpt_135_halfLds_dp_ip_CI_unitstride_sbrr_dirReg,@function
fft_rtc_fwd_len2025_factors_3_3_5_5_3_3_wgs_135_tpt_135_halfLds_dp_ip_CI_unitstride_sbrr_dirReg: ; @fft_rtc_fwd_len2025_factors_3_3_5_5_3_3_wgs_135_tpt_135_halfLds_dp_ip_CI_unitstride_sbrr_dirReg
; %bb.0:
	s_load_dwordx2 s[2:3], s[4:5], 0x50
	s_load_dwordx4 s[8:11], s[4:5], 0x0
	s_load_dwordx2 s[12:13], s[4:5], 0x18
	v_mul_u32_u24_e32 v1, 0x1e6, v0
	v_add_u32_sdwa v5, s6, v1 dst_sel:DWORD dst_unused:UNUSED_PAD src0_sel:DWORD src1_sel:WORD_1
	v_mov_b32_e32 v3, 0
	s_waitcnt lgkmcnt(0)
	v_cmp_lt_u64_e64 s[0:1], s[10:11], 2
	v_mov_b32_e32 v1, 0
	v_mov_b32_e32 v6, v3
	s_and_b64 vcc, exec, s[0:1]
	v_mov_b32_e32 v2, 0
	s_cbranch_vccnz .LBB0_8
; %bb.1:
	s_load_dwordx2 s[0:1], s[4:5], 0x10
	s_add_u32 s6, s12, 8
	s_addc_u32 s7, s13, 0
	v_mov_b32_e32 v1, 0
	v_mov_b32_e32 v2, 0
	s_waitcnt lgkmcnt(0)
	s_add_u32 s14, s0, 8
	s_addc_u32 s15, s1, 0
	s_mov_b64 s[16:17], 1
.LBB0_2:                                ; =>This Inner Loop Header: Depth=1
	s_load_dwordx2 s[18:19], s[14:15], 0x0
                                        ; implicit-def: $vgpr7_vgpr8
	s_waitcnt lgkmcnt(0)
	v_or_b32_e32 v4, s19, v6
	v_cmp_ne_u64_e32 vcc, 0, v[3:4]
	s_and_saveexec_b64 s[0:1], vcc
	s_xor_b64 s[20:21], exec, s[0:1]
	s_cbranch_execz .LBB0_4
; %bb.3:                                ;   in Loop: Header=BB0_2 Depth=1
	v_cvt_f32_u32_e32 v4, s18
	v_cvt_f32_u32_e32 v7, s19
	s_sub_u32 s0, 0, s18
	s_subb_u32 s1, 0, s19
	v_mac_f32_e32 v4, 0x4f800000, v7
	v_rcp_f32_e32 v4, v4
	v_mul_f32_e32 v4, 0x5f7ffffc, v4
	v_mul_f32_e32 v7, 0x2f800000, v4
	v_trunc_f32_e32 v7, v7
	v_mac_f32_e32 v4, 0xcf800000, v7
	v_cvt_u32_f32_e32 v7, v7
	v_cvt_u32_f32_e32 v4, v4
	v_mul_lo_u32 v8, s0, v7
	v_mul_hi_u32 v9, s0, v4
	v_mul_lo_u32 v11, s1, v4
	v_mul_lo_u32 v10, s0, v4
	v_add_u32_e32 v8, v9, v8
	v_add_u32_e32 v8, v8, v11
	v_mul_hi_u32 v9, v4, v10
	v_mul_lo_u32 v11, v4, v8
	v_mul_hi_u32 v13, v4, v8
	v_mul_hi_u32 v12, v7, v10
	v_mul_lo_u32 v10, v7, v10
	v_mul_hi_u32 v14, v7, v8
	v_add_co_u32_e32 v9, vcc, v9, v11
	v_addc_co_u32_e32 v11, vcc, 0, v13, vcc
	v_mul_lo_u32 v8, v7, v8
	v_add_co_u32_e32 v9, vcc, v9, v10
	v_addc_co_u32_e32 v9, vcc, v11, v12, vcc
	v_addc_co_u32_e32 v10, vcc, 0, v14, vcc
	v_add_co_u32_e32 v8, vcc, v9, v8
	v_addc_co_u32_e32 v9, vcc, 0, v10, vcc
	v_add_co_u32_e32 v4, vcc, v4, v8
	v_addc_co_u32_e32 v7, vcc, v7, v9, vcc
	v_mul_lo_u32 v8, s0, v7
	v_mul_hi_u32 v9, s0, v4
	v_mul_lo_u32 v10, s1, v4
	v_mul_lo_u32 v11, s0, v4
	v_add_u32_e32 v8, v9, v8
	v_add_u32_e32 v8, v8, v10
	v_mul_lo_u32 v12, v4, v8
	v_mul_hi_u32 v13, v4, v11
	v_mul_hi_u32 v14, v4, v8
	;; [unrolled: 1-line block ×3, first 2 shown]
	v_mul_lo_u32 v11, v7, v11
	v_mul_hi_u32 v9, v7, v8
	v_add_co_u32_e32 v12, vcc, v13, v12
	v_addc_co_u32_e32 v13, vcc, 0, v14, vcc
	v_mul_lo_u32 v8, v7, v8
	v_add_co_u32_e32 v11, vcc, v12, v11
	v_addc_co_u32_e32 v10, vcc, v13, v10, vcc
	v_addc_co_u32_e32 v9, vcc, 0, v9, vcc
	v_add_co_u32_e32 v8, vcc, v10, v8
	v_addc_co_u32_e32 v9, vcc, 0, v9, vcc
	v_add_co_u32_e32 v4, vcc, v4, v8
	v_addc_co_u32_e32 v9, vcc, v7, v9, vcc
	v_mad_u64_u32 v[7:8], s[0:1], v5, v9, 0
	v_mul_hi_u32 v10, v5, v4
	v_add_co_u32_e32 v11, vcc, v10, v7
	v_addc_co_u32_e32 v12, vcc, 0, v8, vcc
	v_mad_u64_u32 v[7:8], s[0:1], v6, v4, 0
	v_mad_u64_u32 v[9:10], s[0:1], v6, v9, 0
	v_add_co_u32_e32 v4, vcc, v11, v7
	v_addc_co_u32_e32 v4, vcc, v12, v8, vcc
	v_addc_co_u32_e32 v7, vcc, 0, v10, vcc
	v_add_co_u32_e32 v4, vcc, v4, v9
	v_addc_co_u32_e32 v9, vcc, 0, v7, vcc
	v_mul_lo_u32 v10, s19, v4
	v_mul_lo_u32 v11, s18, v9
	v_mad_u64_u32 v[7:8], s[0:1], s18, v4, 0
	v_add3_u32 v8, v8, v11, v10
	v_sub_u32_e32 v10, v6, v8
	v_mov_b32_e32 v11, s19
	v_sub_co_u32_e32 v7, vcc, v5, v7
	v_subb_co_u32_e64 v10, s[0:1], v10, v11, vcc
	v_subrev_co_u32_e64 v11, s[0:1], s18, v7
	v_subbrev_co_u32_e64 v10, s[0:1], 0, v10, s[0:1]
	v_cmp_le_u32_e64 s[0:1], s19, v10
	v_cndmask_b32_e64 v12, 0, -1, s[0:1]
	v_cmp_le_u32_e64 s[0:1], s18, v11
	v_cndmask_b32_e64 v11, 0, -1, s[0:1]
	v_cmp_eq_u32_e64 s[0:1], s19, v10
	v_cndmask_b32_e64 v10, v12, v11, s[0:1]
	v_add_co_u32_e64 v11, s[0:1], 2, v4
	v_addc_co_u32_e64 v12, s[0:1], 0, v9, s[0:1]
	v_add_co_u32_e64 v13, s[0:1], 1, v4
	v_addc_co_u32_e64 v14, s[0:1], 0, v9, s[0:1]
	v_subb_co_u32_e32 v8, vcc, v6, v8, vcc
	v_cmp_ne_u32_e64 s[0:1], 0, v10
	v_cmp_le_u32_e32 vcc, s19, v8
	v_cndmask_b32_e64 v10, v14, v12, s[0:1]
	v_cndmask_b32_e64 v12, 0, -1, vcc
	v_cmp_le_u32_e32 vcc, s18, v7
	v_cndmask_b32_e64 v7, 0, -1, vcc
	v_cmp_eq_u32_e32 vcc, s19, v8
	v_cndmask_b32_e32 v7, v12, v7, vcc
	v_cmp_ne_u32_e32 vcc, 0, v7
	v_cndmask_b32_e64 v7, v13, v11, s[0:1]
	v_cndmask_b32_e32 v8, v9, v10, vcc
	v_cndmask_b32_e32 v7, v4, v7, vcc
.LBB0_4:                                ;   in Loop: Header=BB0_2 Depth=1
	s_andn2_saveexec_b64 s[0:1], s[20:21]
	s_cbranch_execz .LBB0_6
; %bb.5:                                ;   in Loop: Header=BB0_2 Depth=1
	v_cvt_f32_u32_e32 v4, s18
	s_sub_i32 s20, 0, s18
	v_rcp_iflag_f32_e32 v4, v4
	v_mul_f32_e32 v4, 0x4f7ffffe, v4
	v_cvt_u32_f32_e32 v4, v4
	v_mul_lo_u32 v7, s20, v4
	v_mul_hi_u32 v7, v4, v7
	v_add_u32_e32 v4, v4, v7
	v_mul_hi_u32 v4, v5, v4
	v_mul_lo_u32 v7, v4, s18
	v_add_u32_e32 v8, 1, v4
	v_sub_u32_e32 v7, v5, v7
	v_subrev_u32_e32 v9, s18, v7
	v_cmp_le_u32_e32 vcc, s18, v7
	v_cndmask_b32_e32 v7, v7, v9, vcc
	v_cndmask_b32_e32 v4, v4, v8, vcc
	v_add_u32_e32 v8, 1, v4
	v_cmp_le_u32_e32 vcc, s18, v7
	v_cndmask_b32_e32 v7, v4, v8, vcc
	v_mov_b32_e32 v8, v3
.LBB0_6:                                ;   in Loop: Header=BB0_2 Depth=1
	s_or_b64 exec, exec, s[0:1]
	v_mul_lo_u32 v4, v8, s18
	v_mul_lo_u32 v11, v7, s19
	v_mad_u64_u32 v[9:10], s[0:1], v7, s18, 0
	s_load_dwordx2 s[0:1], s[6:7], 0x0
	s_add_u32 s16, s16, 1
	v_add3_u32 v4, v10, v11, v4
	v_sub_co_u32_e32 v5, vcc, v5, v9
	v_subb_co_u32_e32 v4, vcc, v6, v4, vcc
	s_waitcnt lgkmcnt(0)
	v_mul_lo_u32 v4, s0, v4
	v_mul_lo_u32 v6, s1, v5
	v_mad_u64_u32 v[1:2], s[0:1], s0, v5, v[1:2]
	s_addc_u32 s17, s17, 0
	s_add_u32 s6, s6, 8
	v_add3_u32 v2, v6, v2, v4
	v_mov_b32_e32 v4, s10
	v_mov_b32_e32 v5, s11
	s_addc_u32 s7, s7, 0
	v_cmp_ge_u64_e32 vcc, s[16:17], v[4:5]
	s_add_u32 s14, s14, 8
	s_addc_u32 s15, s15, 0
	s_cbranch_vccnz .LBB0_9
; %bb.7:                                ;   in Loop: Header=BB0_2 Depth=1
	v_mov_b32_e32 v5, v7
	v_mov_b32_e32 v6, v8
	s_branch .LBB0_2
.LBB0_8:
	v_mov_b32_e32 v8, v6
	v_mov_b32_e32 v7, v5
.LBB0_9:
	s_lshl_b64 s[0:1], s[10:11], 3
	s_add_u32 s0, s12, s0
	s_addc_u32 s1, s13, s1
	s_load_dwordx2 s[6:7], s[0:1], 0x0
	s_load_dwordx2 s[10:11], s[4:5], 0x20
                                        ; implicit-def: $vgpr18_vgpr19
                                        ; implicit-def: $vgpr22_vgpr23
                                        ; implicit-def: $vgpr14_vgpr15
                                        ; implicit-def: $vgpr26_vgpr27
                                        ; implicit-def: $vgpr30_vgpr31
                                        ; implicit-def: $vgpr34_vgpr35
                                        ; implicit-def: $vgpr38_vgpr39
                                        ; implicit-def: $vgpr42_vgpr43
                                        ; implicit-def: $vgpr46_vgpr47
                                        ; implicit-def: $vgpr50_vgpr51
                                        ; implicit-def: $vgpr54_vgpr55
                                        ; implicit-def: $vgpr58_vgpr59
                                        ; implicit-def: $vgpr10_vgpr11
	s_waitcnt lgkmcnt(0)
	v_mad_u64_u32 v[1:2], s[0:1], s6, v7, v[1:2]
	v_mul_lo_u32 v3, s6, v8
	v_mul_lo_u32 v4, s7, v7
	s_mov_b32 s0, 0x1e573ad
	v_mul_hi_u32 v5, v0, s0
	v_cmp_gt_u64_e64 s[0:1], s[10:11], v[7:8]
	v_add3_u32 v2, v4, v2, v3
	v_lshlrev_b64 v[62:63], 4, v[1:2]
	v_mul_u32_u24_e32 v3, 0x87, v5
	v_sub_u32_e32 v60, v0, v3
                                        ; implicit-def: $vgpr6_vgpr7
                                        ; implicit-def: $vgpr2_vgpr3
	s_and_saveexec_b64 s[4:5], s[0:1]
	s_cbranch_execz .LBB0_11
; %bb.10:
	v_mov_b32_e32 v61, 0
	v_mov_b32_e32 v0, s3
	v_add_co_u32_e32 v2, vcc, s2, v62
	v_addc_co_u32_e32 v3, vcc, v0, v63, vcc
	v_lshlrev_b64 v[0:1], 4, v[60:61]
	s_movk_i32 s6, 0x2000
	v_add_co_u32_e32 v4, vcc, v2, v0
	v_addc_co_u32_e32 v5, vcc, v3, v1, vcc
	v_add_co_u32_e32 v64, vcc, s6, v4
	v_addc_co_u32_e32 v65, vcc, 0, v5, vcc
	s_movk_i32 s6, 0x5000
	v_add_co_u32_e32 v66, vcc, s6, v4
	v_addc_co_u32_e32 v67, vcc, 0, v5, vcc
	s_movk_i32 s6, 0x3000
	;; [unrolled: 3-line block ×5, first 2 shown]
	v_add_co_u32_e32 v74, vcc, s6, v4
	v_addc_co_u32_e32 v75, vcc, 0, v5, vcc
	v_add_co_u32_e32 v76, vcc, 0x7000, v4
	global_load_dwordx4 v[8:11], v[4:5], off
	global_load_dwordx4 v[0:3], v[4:5], off offset:2160
	v_addc_co_u32_e32 v77, vcc, 0, v5, vcc
	global_load_dwordx4 v[52:55], v[66:67], off offset:1120
	global_load_dwordx4 v[44:47], v[66:67], off offset:3280
	;; [unrolled: 1-line block ×13, first 2 shown]
.LBB0_11:
	s_or_b64 exec, exec, s[4:5]
	s_waitcnt vmcnt(4)
	v_add_f64 v[64:65], v[52:53], v[56:57]
	v_add_f64 v[66:67], v[56:57], v[8:9]
	v_add_f64 v[68:69], v[58:59], -v[54:55]
	v_add_f64 v[70:71], v[54:55], v[58:59]
	v_add_f64 v[58:59], v[58:59], v[10:11]
	;; [unrolled: 1-line block ×4, first 2 shown]
	s_mov_b32 s4, 0xe8584caa
	v_fma_f64 v[8:9], v[64:65], -0.5, v[8:9]
	v_add_f64 v[64:65], v[44:45], v[48:49]
	s_mov_b32 s5, 0x3febb67a
	s_mov_b32 s7, 0xbfebb67a
	;; [unrolled: 1-line block ×3, first 2 shown]
	v_add_f64 v[56:57], v[56:57], -v[52:53]
	v_fma_f64 v[70:71], v[70:71], -0.5, v[10:11]
	v_add_f64 v[52:53], v[52:53], v[66:67]
	v_fma_f64 v[10:11], v[68:69], s[4:5], v[8:9]
	v_fma_f64 v[8:9], v[68:69], s[6:7], v[8:9]
	v_add_f64 v[67:68], v[54:55], v[58:59]
	v_add_f64 v[54:55], v[50:51], v[2:3]
	v_fma_f64 v[0:1], v[64:65], -0.5, v[0:1]
	v_fma_f64 v[72:73], v[72:73], -0.5, v[2:3]
	v_add_f64 v[2:3], v[32:33], v[36:37]
	v_add_f64 v[58:59], v[34:35], v[38:39]
	v_add_f64 v[64:65], v[44:45], v[74:75]
	v_add_f64 v[74:75], v[36:37], v[40:41]
	v_add_f64 v[50:51], v[50:51], -v[46:47]
	v_add_f64 v[44:45], v[48:49], -v[44:45]
	s_waitcnt vmcnt(2)
	v_add_f64 v[48:49], v[12:13], v[24:25]
	v_add_f64 v[36:37], v[36:37], -v[32:33]
	v_fma_f64 v[2:3], v[2:3], -0.5, v[40:41]
	v_fma_f64 v[40:41], v[58:59], -0.5, v[42:43]
	v_add_f64 v[42:43], v[38:39], v[42:43]
	v_add_f64 v[38:39], v[38:39], -v[34:35]
	v_add_f64 v[32:33], v[32:33], v[74:75]
	v_add_f64 v[58:59], v[14:15], v[26:27]
	s_waitcnt vmcnt(0)
	v_add_f64 v[74:75], v[4:5], v[16:17]
	v_add_f64 v[46:47], v[46:47], v[54:55]
	v_fma_f64 v[54:55], v[50:51], s[4:5], v[0:1]
	v_fma_f64 v[0:1], v[50:51], s[6:7], v[0:1]
	v_fma_f64 v[48:49], v[48:49], -0.5, v[28:29]
	v_add_f64 v[50:51], v[26:27], -v[14:15]
	v_add_f64 v[34:35], v[34:35], v[42:43]
	v_fma_f64 v[42:43], v[38:39], s[4:5], v[2:3]
	v_add_f64 v[28:29], v[24:25], v[28:29]
	v_fma_f64 v[76:77], v[58:59], -0.5, v[30:31]
	v_add_f64 v[26:27], v[26:27], v[30:31]
	v_add_f64 v[30:31], v[16:17], v[20:21]
	v_fma_f64 v[20:21], v[74:75], -0.5, v[20:21]
	v_add_f64 v[58:59], v[18:19], -v[6:7]
	v_fma_f64 v[2:3], v[38:39], s[6:7], v[2:3]
	v_mad_u32_u24 v69, v60, 24, 0
	v_add_u32_e32 v80, 0xca8, v69
	v_fma_f64 v[38:39], v[50:51], s[4:5], v[48:49]
	v_fma_f64 v[48:49], v[50:51], s[6:7], v[48:49]
	v_add_f64 v[50:51], v[6:7], v[18:19]
	ds_write2_b64 v69, v[52:53], v[10:11] offset1:1
	ds_write_b64 v69, v[8:9] offset:16
	ds_write2_b64 v80, v[64:65], v[54:55] offset1:1
	ds_write_b64 v69, v[0:1] offset:3256
	v_add_u32_e32 v65, 0x1950, v69
	v_add_f64 v[74:75], v[24:25], -v[12:13]
	v_add_f64 v[18:19], v[18:19], v[22:23]
	v_add_f64 v[12:13], v[12:13], v[28:29]
	v_add_f64 v[28:29], v[16:17], -v[4:5]
	v_add_f64 v[78:79], v[14:15], v[26:27]
	v_add_f64 v[4:5], v[4:5], v[30:31]
	v_fma_f64 v[14:15], v[58:59], s[4:5], v[20:21]
	ds_write2_b64 v65, v[32:33], v[42:43] offset1:1
	ds_write_b64 v69, v[2:3] offset:6496
	v_fma_f64 v[32:33], v[56:57], s[6:7], v[70:71]
	v_fma_f64 v[16:17], v[58:59], s[6:7], v[20:21]
	v_lshlrev_b32_e32 v0, 4, v60
	v_sub_u32_e32 v54, v69, v0
	v_fma_f64 v[50:51], v[50:51], -0.5, v[22:23]
	v_add_u32_e32 v81, 0x25f8, v69
	v_add_u32_e32 v82, 0x32a0, v69
	;; [unrolled: 1-line block ×8, first 2 shown]
	v_add_f64 v[30:31], v[6:7], v[18:19]
	ds_write2_b64 v81, v[12:13], v[38:39] offset1:1
	ds_write_b64 v69, v[48:49] offset:9736
	ds_write2_b64 v82, v[4:5], v[14:15] offset1:1
	ds_write_b64 v69, v[16:17] offset:12976
	s_waitcnt lgkmcnt(0)
	s_barrier
	ds_read2_b64 v[8:11], v54 offset1:135
	ds_read2_b64 v[0:3], v58 offset0:28 offset1:163
	ds_read2_b64 v[12:15], v55 offset0:70 offset1:205
	ds_read2_b64 v[16:19], v59 offset0:42 offset1:177
	ds_read2_b64 v[4:7], v61 offset0:14 offset1:149
	ds_read2_b64 v[20:23], v64 offset0:84 offset1:219
	ds_read2_b64 v[24:27], v66 offset0:56 offset1:191
	ds_read_b64 v[52:53], v54 offset:15120
	s_waitcnt lgkmcnt(0)
	s_barrier
	ds_write2_b64 v69, v[67:68], v[32:33] offset1:1
	v_fma_f64 v[32:33], v[56:57], s[4:5], v[70:71]
	v_fma_f64 v[38:39], v[44:45], s[6:7], v[72:73]
	;; [unrolled: 1-line block ×9, first 2 shown]
	s_movk_i32 s10, 0xab
	ds_write_b64 v69, v[32:33] offset:16
	ds_write2_b64 v80, v[46:47], v[38:39] offset1:1
	ds_write_b64 v69, v[42:43] offset:3256
	ds_write2_b64 v65, v[34:35], v[44:45] offset1:1
	;; [unrolled: 2-line block ×4, first 2 shown]
	ds_write_b64 v69, v[28:29] offset:12976
	v_mul_lo_u16_sdwa v28, v60, s10 dst_sel:DWORD dst_unused:UNUSED_PAD src0_sel:BYTE_0 src1_sel:DWORD
	v_add_u32_e32 v67, 0x87, v60
	s_mov_b32 s10, 0xaaab
	v_mul_u32_u24_sdwa v32, v67, s10 dst_sel:DWORD dst_unused:UNUSED_PAD src0_sel:WORD_0 src1_sel:DWORD
	v_lshrrev_b16_e32 v98, 9, v28
	v_lshrrev_b32_e32 v100, 17, v32
	v_mul_lo_u16_e32 v28, 3, v98
	v_mul_lo_u16_e32 v32, 3, v100
	v_sub_u16_e32 v99, v60, v28
	v_mov_b32_e32 v28, 5
	v_sub_u16_e32 v101, v67, v32
	v_lshlrev_b32_sdwa v65, v28, v99 dst_sel:DWORD dst_unused:UNUSED_PAD src0_sel:DWORD src1_sel:BYTE_0
	v_lshlrev_b32_e32 v40, 5, v101
	s_waitcnt lgkmcnt(0)
	s_barrier
	global_load_dwordx4 v[28:31], v65, s[8:9] offset:16
	global_load_dwordx4 v[32:35], v40, s[8:9] offset:16
	global_load_dwordx4 v[36:39], v40, s[8:9]
	v_add_u32_e32 v56, 0x10e, v60
	v_mul_u32_u24_sdwa v40, v56, s10 dst_sel:DWORD dst_unused:UNUSED_PAD src0_sel:WORD_0 src1_sel:DWORD
	v_lshrrev_b32_e32 v102, 17, v40
	v_mul_lo_u16_e32 v40, 3, v102
	v_sub_u16_e32 v103, v56, v40
	v_lshlrev_b32_e32 v48, 5, v103
	global_load_dwordx4 v[40:43], v48, s[8:9]
	global_load_dwordx4 v[44:47], v48, s[8:9] offset:16
	v_add_u32_e32 v57, 0x195, v60
	v_mul_u32_u24_sdwa v48, v57, s10 dst_sel:DWORD dst_unused:UNUSED_PAD src0_sel:WORD_0 src1_sel:DWORD
	v_lshrrev_b32_e32 v104, 17, v48
	v_mul_lo_u16_e32 v48, 3, v104
	v_sub_u16_e32 v105, v57, v48
	v_lshlrev_b32_e32 v76, 5, v105
	global_load_dwordx4 v[48:51], v65, s[8:9]
	global_load_dwordx4 v[68:71], v76, s[8:9] offset:16
	global_load_dwordx4 v[72:75], v76, s[8:9]
	v_add_u32_e32 v65, 0x21c, v60
	v_mul_u32_u24_sdwa v76, v65, s10 dst_sel:DWORD dst_unused:UNUSED_PAD src0_sel:WORD_0 src1_sel:DWORD
	v_lshrrev_b32_e32 v106, 17, v76
	v_mul_lo_u16_e32 v76, 3, v106
	v_sub_u16_e32 v107, v65, v76
	v_lshlrev_b32_e32 v84, 5, v107
	global_load_dwordx4 v[76:79], v84, s[8:9]
	global_load_dwordx4 v[80:83], v84, s[8:9] offset:16
	ds_read2_b64 v[84:87], v55 offset0:70 offset1:205
	ds_read2_b64 v[88:91], v59 offset0:42 offset1:177
	s_mov_b32 s10, 0xe38f
	s_mov_b32 s14, 0x134454ff
	;; [unrolled: 1-line block ×8, first 2 shown]
	s_movk_i32 s20, 0x6d
	s_waitcnt vmcnt(8) lgkmcnt(1)
	v_mul_f64 v[94:95], v[86:87], v[34:35]
	v_mul_f64 v[34:35], v[14:15], v[34:35]
	;; [unrolled: 1-line block ×4, first 2 shown]
	s_waitcnt vmcnt(7) lgkmcnt(0)
	v_mul_f64 v[96:97], v[88:89], v[38:39]
	v_mul_f64 v[38:39], v[16:17], v[38:39]
	v_fma_f64 v[94:95], v[14:15], v[32:33], -v[94:95]
	v_fma_f64 v[86:87], v[86:87], v[32:33], v[34:35]
	s_waitcnt vmcnt(6)
	v_mul_f64 v[32:33], v[90:91], v[42:43]
	v_fma_f64 v[92:93], v[12:13], v[28:29], -v[92:93]
	v_fma_f64 v[84:85], v[84:85], v[28:29], v[30:31]
	ds_read2_b64 v[12:15], v64 offset0:84 offset1:219
	ds_read2_b64 v[28:31], v58 offset0:28 offset1:163
	v_fma_f64 v[96:97], v[16:17], v[36:37], -v[96:97]
	v_fma_f64 v[34:35], v[88:89], v[36:37], v[38:39]
	v_mul_f64 v[36:37], v[18:19], v[42:43]
	s_waitcnt vmcnt(5) lgkmcnt(1)
	v_mul_f64 v[38:39], v[12:13], v[46:47]
	v_mul_f64 v[42:43], v[20:21], v[46:47]
	v_fma_f64 v[46:47], v[18:19], v[40:41], -v[32:33]
	s_waitcnt vmcnt(4) lgkmcnt(0)
	v_mul_f64 v[32:33], v[30:31], v[50:51]
	ds_read2_b64 v[16:19], v66 offset0:56 offset1:191
	s_waitcnt vmcnt(3)
	v_mul_f64 v[88:89], v[14:15], v[70:71]
	v_mul_f64 v[70:71], v[22:23], v[70:71]
	v_fma_f64 v[36:37], v[90:91], v[40:41], v[36:37]
	v_fma_f64 v[38:39], v[20:21], v[44:45], -v[38:39]
	v_fma_f64 v[40:41], v[12:13], v[44:45], v[42:43]
	s_waitcnt vmcnt(2) lgkmcnt(0)
	v_mul_f64 v[12:13], v[16:17], v[74:75]
	v_fma_f64 v[20:21], v[2:3], v[48:49], -v[32:33]
	v_mul_f64 v[2:3], v[2:3], v[50:51]
	s_waitcnt vmcnt(1)
	v_mul_f64 v[32:33], v[18:19], v[78:79]
	v_fma_f64 v[42:43], v[14:15], v[68:69], v[70:71]
	v_mul_f64 v[14:15], v[24:25], v[74:75]
	ds_read_b64 v[44:45], v54 offset:15120
	v_fma_f64 v[22:23], v[22:23], v[68:69], -v[88:89]
	v_fma_f64 v[50:51], v[24:25], v[72:73], -v[12:13]
	v_add_f64 v[12:13], v[20:21], v[92:93]
	v_fma_f64 v[2:3], v[30:31], v[48:49], v[2:3]
	v_mul_f64 v[24:25], v[26:27], v[78:79]
	s_waitcnt vmcnt(0) lgkmcnt(0)
	v_mul_f64 v[30:31], v[44:45], v[82:83]
	v_mul_f64 v[48:49], v[52:53], v[82:83]
	v_fma_f64 v[69:70], v[16:17], v[72:73], v[14:15]
	v_fma_f64 v[71:72], v[26:27], v[76:77], -v[32:33]
	v_add_f64 v[14:15], v[8:9], v[20:21]
	v_fma_f64 v[8:9], v[12:13], -0.5, v[8:9]
	v_add_f64 v[26:27], v[2:3], -v[84:85]
	v_mov_b32_e32 v68, 3
	v_fma_f64 v[30:31], v[52:53], v[80:81], -v[30:31]
	v_fma_f64 v[44:45], v[44:45], v[80:81], v[48:49]
	v_add_f64 v[52:53], v[96:97], v[94:95]
	v_mul_u32_u24_e32 v12, 0x48, v98
	v_add_f64 v[32:33], v[14:15], v[92:93]
	v_lshlrev_b32_sdwa v13, v68, v99 dst_sel:DWORD dst_unused:UNUSED_PAD src0_sel:DWORD src1_sel:BYTE_0
	v_fma_f64 v[48:49], v[26:27], s[4:5], v[8:9]
	v_add3_u32 v90, 0, v12, v13
	v_fma_f64 v[24:25], v[18:19], v[76:77], v[24:25]
	ds_read2_b64 v[12:15], v54 offset1:135
	ds_read2_b64 v[16:19], v61 offset0:14 offset1:149
	s_waitcnt lgkmcnt(0)
	s_barrier
	v_fma_f64 v[8:9], v[26:27], s[6:7], v[8:9]
	ds_write2_b64 v90, v[32:33], v[48:49] offset1:3
	v_add_f64 v[32:33], v[2:3], v[84:85]
	v_add_f64 v[48:49], v[34:35], v[86:87]
	;; [unrolled: 1-line block ×4, first 2 shown]
	v_fma_f64 v[10:11], v[52:53], -0.5, v[10:11]
	v_add_f64 v[52:53], v[34:35], -v[86:87]
	v_add_f64 v[2:3], v[12:13], v[2:3]
	v_add_f64 v[77:78], v[14:15], v[34:35]
	v_fma_f64 v[75:76], v[32:33], -0.5, v[12:13]
	v_fma_f64 v[48:49], v[48:49], -0.5, v[14:15]
	v_add_f64 v[12:13], v[26:27], v[94:95]
	v_fma_f64 v[14:15], v[73:74], -0.5, v[4:5]
	v_add_f64 v[4:5], v[4:5], v[46:47]
	v_add_f64 v[26:27], v[36:37], -v[40:41]
	v_fma_f64 v[32:33], v[52:53], s[4:5], v[10:11]
	v_fma_f64 v[10:11], v[52:53], s[6:7], v[10:11]
	ds_write_b64 v90, v[8:9] offset:48
	v_mul_u32_u24_e32 v8, 0x48, v100
	v_lshlrev_b32_e32 v9, 3, v101
	v_add3_u32 v91, 0, v8, v9
	v_add_f64 v[4:5], v[4:5], v[38:39]
	v_fma_f64 v[8:9], v[26:27], s[4:5], v[14:15]
	ds_write2_b64 v91, v[12:13], v[32:33] offset1:3
	ds_write_b64 v91, v[10:11] offset:48
	v_add_f64 v[10:11], v[50:51], v[22:23]
	v_mul_u32_u24_e32 v12, 0x48, v102
	v_lshlrev_b32_e32 v13, 3, v103
	v_add3_u32 v98, 0, v12, v13
	v_add_f64 v[12:13], v[36:37], v[40:41]
	v_add_f64 v[36:37], v[16:17], v[36:37]
	ds_write2_b64 v98, v[4:5], v[8:9] offset1:3
	v_add_f64 v[4:5], v[69:70], v[42:43]
	v_fma_f64 v[8:9], v[26:27], s[6:7], v[14:15]
	v_fma_f64 v[10:11], v[10:11], -0.5, v[6:7]
	v_add_f64 v[6:7], v[6:7], v[50:51]
	v_add_f64 v[14:15], v[69:70], -v[42:43]
	v_fma_f64 v[52:53], v[12:13], -0.5, v[16:17]
	v_add_f64 v[12:13], v[71:72], v[30:31]
	v_mul_u32_u24_e32 v16, 0x48, v104
	v_fma_f64 v[73:74], v[4:5], -0.5, v[18:19]
	v_lshlrev_b32_e32 v17, 3, v105
	ds_write_b64 v98, v[8:9] offset:48
	v_add_f64 v[4:5], v[6:7], v[22:23]
	v_fma_f64 v[6:7], v[14:15], s[4:5], v[10:11]
	v_add3_u32 v99, 0, v16, v17
	v_fma_f64 v[8:9], v[12:13], -0.5, v[0:1]
	v_add_f64 v[0:1], v[0:1], v[71:72]
	v_add_f64 v[16:17], v[24:25], v[44:45]
	v_add_f64 v[12:13], v[24:25], -v[44:45]
	v_add_f64 v[88:89], v[96:97], -v[94:95]
	;; [unrolled: 1-line block ×3, first 2 shown]
	ds_write2_b64 v99, v[4:5], v[6:7] offset1:3
	v_fma_f64 v[4:5], v[14:15], s[6:7], v[10:11]
	v_add_f64 v[10:11], v[20:21], -v[92:93]
	v_add_f64 v[69:70], v[18:19], v[69:70]
	v_add_f64 v[22:23], v[50:51], -v[22:23]
	v_add_f64 v[0:1], v[0:1], v[30:31]
	v_fma_f64 v[81:82], v[16:17], -0.5, v[28:29]
	v_add_f64 v[28:29], v[28:29], v[24:25]
	v_add_f64 v[30:31], v[71:72], -v[30:31]
	v_add_f64 v[79:80], v[2:3], v[84:85]
	v_fma_f64 v[2:3], v[12:13], s[4:5], v[8:9]
	v_fma_f64 v[83:84], v[10:11], s[6:7], v[75:76]
	;; [unrolled: 1-line block ×3, first 2 shown]
	v_add_f64 v[46:47], v[77:78], v[86:87]
	v_fma_f64 v[50:51], v[88:89], s[6:7], v[48:49]
	v_fma_f64 v[6:7], v[12:13], s[6:7], v[8:9]
	;; [unrolled: 1-line block ×3, first 2 shown]
	v_add_f64 v[36:37], v[36:37], v[40:41]
	v_fma_f64 v[40:41], v[38:39], s[6:7], v[52:53]
	v_fma_f64 v[38:39], v[38:39], s[4:5], v[52:53]
	v_add_f64 v[42:43], v[69:70], v[42:43]
	v_fma_f64 v[52:53], v[22:23], s[6:7], v[73:74]
	v_fma_f64 v[22:23], v[22:23], s[4:5], v[73:74]
	ds_write_b64 v99, v[4:5] offset:48
	v_mul_u32_u24_e32 v4, 0x48, v106
	v_lshlrev_b32_e32 v5, 3, v107
	v_add_f64 v[28:29], v[28:29], v[44:45]
	v_fma_f64 v[44:45], v[30:31], s[6:7], v[81:82]
	v_add3_u32 v85, 0, v4, v5
	v_fma_f64 v[30:31], v[30:31], s[4:5], v[81:82]
	ds_write2_b64 v85, v[0:1], v[2:3] offset1:3
	ds_write_b64 v85, v[6:7] offset:48
	s_waitcnt lgkmcnt(0)
	s_barrier
	ds_read2_b64 v[4:7], v54 offset1:135
	ds_read2_b64 v[0:3], v61 offset0:14 offset1:149
	ds_read_b64 v[16:17], v54 offset:15120
	ds_read2_b64 v[12:15], v59 offset0:42 offset1:177
	ds_read2_b64 v[24:27], v66 offset0:56 offset1:191
	;; [unrolled: 1-line block ×5, first 2 shown]
	s_waitcnt lgkmcnt(0)
	s_barrier
	ds_write2_b64 v90, v[79:80], v[83:84] offset1:3
	ds_write_b64 v90, v[75:76] offset:48
	ds_write2_b64 v91, v[46:47], v[50:51] offset1:3
	ds_write_b64 v91, v[48:49] offset:48
	;; [unrolled: 2-line block ×5, first 2 shown]
	v_mov_b32_e32 v22, 57
	v_mul_lo_u16_sdwa v22, v60, v22 dst_sel:DWORD dst_unused:UNUSED_PAD src0_sel:BYTE_0 src1_sel:DWORD
	v_lshrrev_b16_e32 v74, 9, v22
	v_mul_lo_u16_e32 v22, 9, v74
	v_sub_u16_e32 v75, v60, v22
	v_mov_b32_e32 v69, 6
	v_lshlrev_b32_sdwa v22, v69, v75 dst_sel:DWORD dst_unused:UNUSED_PAD src0_sel:DWORD src1_sel:BYTE_0
	s_waitcnt lgkmcnt(0)
	s_barrier
	global_load_dwordx4 v[28:31], v22, s[8:9] offset:112
	v_mul_u32_u24_sdwa v23, v67, s10 dst_sel:DWORD dst_unused:UNUSED_PAD src0_sel:WORD_0 src1_sel:DWORD
	v_lshrrev_b32_e32 v73, 19, v23
	v_mul_lo_u16_e32 v23, 9, v73
	v_sub_u16_e32 v70, v67, v23
	v_lshlrev_b32_e32 v23, 6, v70
	global_load_dwordx4 v[36:39], v23, s[8:9] offset:112
	global_load_dwordx4 v[42:45], v22, s[8:9] offset:144
	;; [unrolled: 1-line block ×4, first 2 shown]
	v_mul_u32_u24_sdwa v40, v56, s10 dst_sel:DWORD dst_unused:UNUSED_PAD src0_sel:WORD_0 src1_sel:DWORD
	v_lshrrev_b32_e32 v71, 19, v40
	v_mul_lo_u16_e32 v40, 9, v71
	v_sub_u16_e32 v72, v56, v40
	v_lshlrev_b32_e32 v40, 6, v72
	global_load_dwordx4 v[84:87], v40, s[8:9] offset:96
	global_load_dwordx4 v[88:91], v22, s[8:9] offset:128
	;; [unrolled: 1-line block ×7, first 2 shown]
	ds_read2_b64 v[50:53], v59 offset0:42 offset1:177
	ds_read2_b64 v[112:115], v64 offset0:84 offset1:219
	;; [unrolled: 1-line block ×3, first 2 shown]
	s_mov_b32 s10, 0x4755a5e
	v_mul_u32_u24_e32 v74, 0x168, v74
	v_lshlrev_b32_sdwa v75, v68, v75 dst_sel:DWORD dst_unused:UNUSED_PAD src0_sel:DWORD src1_sel:BYTE_0
	s_mov_b32 s11, 0x3fe2cf23
	s_mov_b32 s16, s10
	v_mul_u32_u24_e32 v73, 0x168, v73
	v_lshlrev_b32_e32 v70, 3, v70
	v_add3_u32 v70, 0, v73, v70
	s_waitcnt vmcnt(11) lgkmcnt(2)
	v_mul_f64 v[22:23], v[50:51], v[30:31]
	v_mul_f64 v[30:31], v[12:13], v[30:31]
	s_waitcnt vmcnt(10)
	v_mul_f64 v[46:47], v[52:53], v[38:39]
	v_fma_f64 v[48:49], v[12:13], v[28:29], -v[22:23]
	v_mul_f64 v[12:13], v[14:15], v[38:39]
	v_fma_f64 v[40:41], v[50:51], v[28:29], v[30:31]
	v_fma_f64 v[30:31], v[14:15], v[36:37], -v[46:47]
	s_waitcnt vmcnt(9) lgkmcnt(1)
	v_mul_f64 v[14:15], v[112:113], v[44:45]
	s_waitcnt vmcnt(8)
	v_mul_f64 v[38:39], v[114:115], v[78:79]
	v_mul_f64 v[46:47], v[20:21], v[78:79]
	v_mul_f64 v[22:23], v[18:19], v[44:45]
	v_fma_f64 v[28:29], v[52:53], v[36:37], v[12:13]
	s_waitcnt vmcnt(7) lgkmcnt(0)
	v_mul_f64 v[12:13], v[116:117], v[82:83]
	v_mul_f64 v[52:53], v[32:33], v[82:83]
	s_waitcnt vmcnt(6)
	v_mul_f64 v[82:83], v[118:119], v[86:87]
	v_fma_f64 v[50:51], v[18:19], v[42:43], -v[14:15]
	v_fma_f64 v[36:37], v[20:21], v[76:77], -v[38:39]
	v_fma_f64 v[18:19], v[114:115], v[76:77], v[46:47]
	ds_read2_b64 v[76:79], v66 offset0:56 offset1:191
	v_fma_f64 v[44:45], v[112:113], v[42:43], v[22:23]
	v_fma_f64 v[38:39], v[32:33], v[80:81], -v[12:13]
	v_fma_f64 v[32:33], v[116:117], v[80:81], v[52:53]
	v_fma_f64 v[20:21], v[34:35], v[84:85], -v[82:83]
	ds_read2_b64 v[80:83], v55 offset0:70 offset1:205
	v_mul_f64 v[22:23], v[34:35], v[86:87]
	s_waitcnt vmcnt(5) lgkmcnt(1)
	v_mul_f64 v[34:35], v[78:79], v[90:91]
	v_mul_f64 v[42:43], v[26:27], v[90:91]
	s_waitcnt vmcnt(4)
	v_mul_f64 v[86:87], v[76:77], v[94:95]
	v_mul_f64 v[90:91], v[24:25], v[94:95]
	s_waitcnt vmcnt(3) lgkmcnt(0)
	v_mul_f64 v[94:95], v[80:81], v[98:99]
	ds_read2_b64 v[12:15], v61 offset0:14 offset1:149
	v_fma_f64 v[22:23], v[118:119], v[84:85], v[22:23]
	v_fma_f64 v[52:53], v[26:27], v[88:89], -v[34:35]
	v_mul_f64 v[84:85], v[8:9], v[98:99]
	s_waitcnt vmcnt(2) lgkmcnt(0)
	v_mul_f64 v[34:35], v[14:15], v[102:103]
	v_fma_f64 v[46:47], v[78:79], v[88:89], v[42:43]
	v_fma_f64 v[42:43], v[8:9], v[96:97], -v[94:95]
	v_mul_f64 v[8:9], v[2:3], v[102:103]
	v_fma_f64 v[26:27], v[24:25], v[92:93], -v[86:87]
	s_waitcnt vmcnt(1)
	v_mul_f64 v[78:79], v[82:83], v[106:107]
	v_add_f64 v[86:87], v[48:49], v[52:53]
	v_fma_f64 v[24:25], v[76:77], v[92:93], v[90:91]
	v_fma_f64 v[2:3], v[2:3], v[100:101], -v[34:35]
	ds_read_b64 v[76:77], v54 offset:15120
	v_fma_f64 v[34:35], v[80:81], v[96:97], v[84:85]
	v_fma_f64 v[14:15], v[14:15], v[100:101], v[8:9]
	s_waitcnt vmcnt(0)
	v_mul_f64 v[8:9], v[16:17], v[110:111]
	v_mul_f64 v[80:81], v[10:11], v[106:107]
	s_waitcnt lgkmcnt(0)
	v_mul_f64 v[84:85], v[76:77], v[110:111]
	v_fma_f64 v[94:95], v[10:11], v[104:105], -v[78:79]
	v_fma_f64 v[10:11], v[86:87], -0.5, v[4:5]
	v_add_f64 v[92:93], v[4:5], v[2:3]
	v_add_f64 v[88:89], v[2:3], -v[48:49]
	v_add_f64 v[78:79], v[14:15], -v[44:45]
	v_fma_f64 v[100:101], v[76:77], v[108:109], v[8:9]
	v_add_f64 v[76:77], v[2:3], v[50:51]
	v_fma_f64 v[96:97], v[82:83], v[104:105], v[80:81]
	v_add_f64 v[82:83], v[40:41], -v[46:47]
	v_add_f64 v[90:91], v[50:51], -v[52:53]
	v_fma_f64 v[98:99], v[16:17], v[108:109], -v[84:85]
	v_add_f64 v[16:17], v[92:93], v[48:49]
	v_fma_f64 v[80:81], v[78:79], s[14:15], v[10:11]
	v_add3_u32 v106, 0, v74, v75
	v_fma_f64 v[4:5], v[76:77], -0.5, v[4:5]
	v_add_f64 v[76:77], v[48:49], -v[2:3]
	v_fma_f64 v[10:11], v[78:79], s[18:19], v[10:11]
	v_add_f64 v[8:9], v[88:89], v[90:91]
	v_add_f64 v[88:89], v[42:43], -v[36:37]
	v_add_f64 v[16:17], v[16:17], v[52:53]
	v_fma_f64 v[74:75], v[82:83], s[10:11], v[80:81]
	v_add_f64 v[80:81], v[52:53], -v[50:51]
	v_fma_f64 v[84:85], v[82:83], s[18:19], v[4:5]
	v_fma_f64 v[4:5], v[82:83], s[14:15], v[4:5]
	v_fma_f64 v[10:11], v[82:83], s[16:17], v[10:11]
	v_add_f64 v[82:83], v[32:33], -v[18:19]
	v_add_f64 v[48:49], v[48:49], -v[52:53]
	v_add_f64 v[16:17], v[16:17], v[50:51]
	v_fma_f64 v[86:87], v[8:9], s[12:13], v[74:75]
	v_add_f64 v[80:81], v[76:77], v[80:81]
	v_fma_f64 v[84:85], v[78:79], s[10:11], v[84:85]
	v_fma_f64 v[4:5], v[78:79], s[16:17], v[4:5]
	v_add_f64 v[78:79], v[30:31], v[42:43]
	ds_read2_b64 v[74:77], v54 offset1:135
	s_waitcnt lgkmcnt(0)
	s_barrier
	ds_write2_b64 v106, v[16:17], v[86:87] offset1:9
	v_fma_f64 v[84:85], v[80:81], s[12:13], v[84:85]
	v_fma_f64 v[4:5], v[80:81], s[12:13], v[4:5]
	v_add_f64 v[80:81], v[38:39], v[36:37]
	v_fma_f64 v[16:17], v[78:79], -0.5, v[6:7]
	v_add_f64 v[78:79], v[6:7], v[38:39]
	v_fma_f64 v[8:9], v[8:9], s[12:13], v[10:11]
	v_add_f64 v[86:87], v[30:31], -v[38:39]
	v_add_f64 v[52:53], v[44:45], -v[46:47]
	;; [unrolled: 1-line block ×3, first 2 shown]
	ds_write2_b64 v106, v[84:85], v[4:5] offset0:18 offset1:27
	v_fma_f64 v[4:5], v[80:81], -0.5, v[6:7]
	v_add_f64 v[6:7], v[28:29], -v[34:35]
	v_add_f64 v[80:81], v[38:39], -v[30:31]
	;; [unrolled: 1-line block ×3, first 2 shown]
	v_add_f64 v[10:11], v[78:79], v[30:31]
	v_fma_f64 v[78:79], v[82:83], s[14:15], v[16:17]
	ds_write_b64 v106, v[8:9] offset:288
	v_fma_f64 v[16:17], v[82:83], s[18:19], v[16:17]
	v_add_f64 v[2:3], v[74:75], v[14:15]
	v_fma_f64 v[90:91], v[6:7], s[18:19], v[4:5]
	v_fma_f64 v[4:5], v[6:7], s[14:15], v[4:5]
	v_add_f64 v[80:81], v[80:81], v[84:85]
	v_add_f64 v[8:9], v[10:11], v[42:43]
	v_fma_f64 v[10:11], v[6:7], s[10:11], v[78:79]
	v_add_f64 v[78:79], v[86:87], v[88:89]
	v_fma_f64 v[6:7], v[6:7], s[16:17], v[16:17]
	v_add_f64 v[86:87], v[20:21], -v[26:27]
	v_fma_f64 v[84:85], v[82:83], s[10:11], v[90:91]
	v_fma_f64 v[4:5], v[82:83], s[16:17], v[4:5]
	v_add_f64 v[82:83], v[26:27], v[94:95]
	v_add_f64 v[8:9], v[8:9], v[36:37]
	v_fma_f64 v[10:11], v[80:81], s[12:13], v[10:11]
	v_add_f64 v[90:91], v[22:23], -v[100:101]
	v_add_f64 v[88:89], v[98:99], -v[94:95]
	v_add_f64 v[2:3], v[2:3], v[40:41]
	v_fma_f64 v[84:85], v[78:79], s[12:13], v[84:85]
	v_fma_f64 v[4:5], v[78:79], s[12:13], v[4:5]
	v_fma_f64 v[16:17], v[82:83], -0.5, v[0:1]
	v_add_f64 v[78:79], v[0:1], v[20:21]
	v_add_f64 v[82:83], v[20:21], v[98:99]
	ds_write2_b64 v70, v[8:9], v[10:11] offset1:9
	ds_write2_b64 v70, v[84:85], v[4:5] offset0:18 offset1:27
	v_fma_f64 v[4:5], v[80:81], s[12:13], v[6:7]
	v_add_f64 v[8:9], v[24:25], -v[96:97]
	v_add_f64 v[6:7], v[78:79], v[26:27]
	v_fma_f64 v[0:1], v[82:83], -0.5, v[0:1]
	v_fma_f64 v[78:79], v[90:91], s[14:15], v[16:17]
	v_add_f64 v[80:81], v[26:27], -v[20:21]
	v_add_f64 v[82:83], v[94:95], -v[98:99]
	v_fma_f64 v[16:17], v[90:91], s[18:19], v[16:17]
	ds_write_b64 v70, v[4:5] offset:288
	v_add_f64 v[10:11], v[86:87], v[88:89]
	v_add_f64 v[4:5], v[6:7], v[94:95]
	;; [unrolled: 1-line block ×3, first 2 shown]
	v_fma_f64 v[84:85], v[8:9], s[18:19], v[0:1]
	v_fma_f64 v[0:1], v[8:9], s[14:15], v[0:1]
	;; [unrolled: 1-line block ×3, first 2 shown]
	v_add_f64 v[80:81], v[80:81], v[82:83]
	v_fma_f64 v[8:9], v[8:9], s[16:17], v[16:17]
	v_add_f64 v[16:17], v[14:15], -v[40:41]
	v_add_f64 v[4:5], v[4:5], v[98:99]
	v_fma_f64 v[92:93], v[6:7], -0.5, v[74:75]
	v_fma_f64 v[6:7], v[90:91], s[10:11], v[84:85]
	v_fma_f64 v[0:1], v[90:91], s[16:17], v[0:1]
	;; [unrolled: 1-line block ×3, first 2 shown]
	v_add_f64 v[2:3], v[2:3], v[46:47]
	v_fma_f64 v[8:9], v[10:11], s[12:13], v[8:9]
	v_add_f64 v[52:53], v[16:17], v[52:53]
	v_mul_u32_u24_e32 v16, 0x168, v71
	v_lshlrev_b32_e32 v17, 3, v72
	v_fma_f64 v[6:7], v[80:81], s[12:13], v[6:7]
	v_fma_f64 v[0:1], v[80:81], s[12:13], v[0:1]
	v_add3_u32 v107, 0, v16, v17
	ds_write2_b64 v107, v[4:5], v[78:79] offset1:9
	ds_write2_b64 v107, v[6:7], v[0:1] offset0:18 offset1:27
	ds_write_b64 v107, v[8:9] offset:288
	v_add_f64 v[8:9], v[14:15], v[44:45]
	v_fma_f64 v[82:83], v[50:51], s[18:19], v[92:93]
	v_add_f64 v[90:91], v[2:3], v[44:45]
	v_add_f64 v[14:15], v[40:41], -v[14:15]
	v_add_f64 v[40:41], v[46:47], -v[44:45]
	v_fma_f64 v[92:93], v[50:51], s[14:15], v[92:93]
	v_add_f64 v[30:31], v[30:31], -v[42:43]
	s_waitcnt lgkmcnt(0)
	v_fma_f64 v[104:105], v[8:9], -0.5, v[74:75]
	v_fma_f64 v[10:11], v[48:49], s[16:17], v[82:83]
	s_barrier
	v_add_f64 v[14:15], v[14:15], v[40:41]
	ds_read_b64 v[16:17], v54 offset:15120
	ds_read2_b64 v[4:7], v54 offset1:135
	ds_read2_b64 v[0:3], v61 offset0:14 offset1:149
	ds_read2_b64 v[78:81], v59 offset0:42 offset1:177
	v_add_f64 v[36:37], v[38:39], -v[36:37]
	v_add_f64 v[38:39], v[32:33], -v[28:29]
	v_fma_f64 v[44:45], v[48:49], s[14:15], v[104:105]
	v_fma_f64 v[46:47], v[48:49], s[18:19], v[104:105]
	;; [unrolled: 1-line block ×3, first 2 shown]
	v_add_f64 v[104:105], v[28:29], v[34:35]
	ds_read2_b64 v[71:74], v66 offset0:56 offset1:191
	ds_read2_b64 v[82:85], v64 offset0:84 offset1:219
	;; [unrolled: 1-line block ×4, first 2 shown]
	s_waitcnt lgkmcnt(0)
	s_barrier
	v_fma_f64 v[40:41], v[50:51], s[16:17], v[44:45]
	v_fma_f64 v[44:45], v[50:51], s[10:11], v[46:47]
	;; [unrolled: 1-line block ×3, first 2 shown]
	v_add_f64 v[48:49], v[32:33], v[18:19]
	v_add_f64 v[92:93], v[76:77], v[32:33]
	ds_write2_b64 v106, v[90:91], v[102:103] offset1:9
	v_add_f64 v[90:91], v[18:19], -v[34:35]
	v_fma_f64 v[50:51], v[104:105], -0.5, v[76:77]
	v_fma_f64 v[40:41], v[14:15], s[12:13], v[40:41]
	v_fma_f64 v[14:15], v[14:15], s[12:13], v[44:45]
	;; [unrolled: 1-line block ×3, first 2 shown]
	v_fma_f64 v[44:45], v[48:49], -0.5, v[76:77]
	v_add_f64 v[48:49], v[92:93], v[28:29]
	v_add_f64 v[28:29], v[28:29], -v[32:33]
	v_add_f64 v[32:33], v[34:35], -v[18:19]
	v_add_f64 v[75:76], v[24:25], v[96:97]
	v_add_f64 v[38:39], v[38:39], v[90:91]
	;; [unrolled: 1-line block ×3, first 2 shown]
	v_fma_f64 v[46:47], v[36:37], s[18:19], v[50:51]
	v_fma_f64 v[52:53], v[30:31], s[14:15], v[44:45]
	;; [unrolled: 1-line block ×4, first 2 shown]
	v_add_f64 v[34:35], v[48:49], v[34:35]
	v_add_f64 v[28:29], v[28:29], v[32:33]
	v_fma_f64 v[48:49], v[75:76], -0.5, v[12:13]
	v_add_f64 v[20:21], v[20:21], -v[98:99]
	v_add_f64 v[26:27], v[26:27], -v[94:95]
	v_fma_f64 v[32:33], v[36:37], s[16:17], v[52:53]
	v_fma_f64 v[36:37], v[36:37], s[10:11], v[44:45]
	v_add_f64 v[44:45], v[12:13], v[22:23]
	v_fma_f64 v[12:13], v[90:91], -0.5, v[12:13]
	v_fma_f64 v[46:47], v[30:31], s[16:17], v[46:47]
	v_fma_f64 v[30:31], v[30:31], s[10:11], v[50:51]
	v_add_f64 v[18:19], v[34:35], v[18:19]
	v_add_f64 v[34:35], v[22:23], -v[24:25]
	v_add_f64 v[50:51], v[100:101], -v[96:97]
	v_fma_f64 v[75:76], v[20:21], s[18:19], v[48:49]
	v_add_f64 v[44:45], v[44:45], v[24:25]
	v_add_f64 v[22:23], v[24:25], -v[22:23]
	v_add_f64 v[24:25], v[96:97], -v[100:101]
	v_fma_f64 v[52:53], v[26:27], s[14:15], v[12:13]
	v_fma_f64 v[12:13], v[26:27], s[18:19], v[12:13]
	;; [unrolled: 1-line block ×3, first 2 shown]
	v_add_f64 v[34:35], v[34:35], v[50:51]
	v_fma_f64 v[50:51], v[26:27], s[16:17], v[75:76]
	v_add_f64 v[44:45], v[44:45], v[96:97]
	v_fma_f64 v[46:47], v[38:39], s[12:13], v[46:47]
	;; [unrolled: 2-line block ×3, first 2 shown]
	v_fma_f64 v[12:13], v[20:21], s[10:11], v[12:13]
	v_fma_f64 v[20:21], v[26:27], s[10:11], v[48:49]
	;; [unrolled: 1-line block ×5, first 2 shown]
	v_add_f64 v[32:33], v[44:45], v[100:101]
	v_fma_f64 v[36:37], v[34:35], s[12:13], v[50:51]
	v_fma_f64 v[24:25], v[22:23], s[12:13], v[24:25]
	;; [unrolled: 1-line block ×4, first 2 shown]
	ds_write2_b64 v106, v[40:41], v[14:15] offset0:18 offset1:27
	ds_write_b64 v106, v[42:43] offset:288
	ds_write2_b64 v70, v[18:19], v[46:47] offset1:9
	ds_write2_b64 v70, v[30:31], v[28:29] offset0:18 offset1:27
	ds_write_b64 v70, v[26:27] offset:288
	ds_write2_b64 v107, v[32:33], v[36:37] offset1:9
	ds_write2_b64 v107, v[24:25], v[12:13] offset0:18 offset1:27
	ds_write_b64 v107, v[20:21] offset:288
	v_mul_lo_u16_sdwa v12, v60, s20 dst_sel:DWORD dst_unused:UNUSED_PAD src0_sel:BYTE_0 src1_sel:DWORD
	v_sub_u16_sdwa v13, v60, v12 dst_sel:DWORD dst_unused:UNUSED_PAD src0_sel:DWORD src1_sel:BYTE_1
	v_lshrrev_b16_e32 v13, 1, v13
	v_and_b32_e32 v13, 0x7f, v13
	v_add_u16_sdwa v12, v13, v12 dst_sel:DWORD dst_unused:UNUSED_PAD src0_sel:DWORD src1_sel:BYTE_1
	v_lshrrev_b16_e32 v53, 5, v12
	v_mul_lo_u16_e32 v12, 45, v53
	v_sub_u16_e32 v70, v60, v12
	v_lshlrev_b32_sdwa v26, v69, v70 dst_sel:DWORD dst_unused:UNUSED_PAD src0_sel:DWORD src1_sel:BYTE_0
	s_waitcnt lgkmcnt(0)
	s_barrier
	global_load_dwordx4 v[12:15], v26, s[8:9] offset:688
	s_movk_i32 s20, 0x2d83
	v_mul_u32_u24_sdwa v18, v67, s20 dst_sel:DWORD dst_unused:UNUSED_PAD src0_sel:WORD_0 src1_sel:DWORD
	v_lshrrev_b32_e32 v69, 19, v18
	v_mul_lo_u16_e32 v18, 45, v69
	v_sub_u16_e32 v51, v67, v18
	v_lshlrev_b32_e32 v27, 6, v51
	global_load_dwordx4 v[18:21], v27, s[8:9] offset:688
	global_load_dwordx4 v[22:25], v26, s[8:9] offset:720
	;; [unrolled: 1-line block ×4, first 2 shown]
	v_mul_u32_u24_sdwa v28, v56, s20 dst_sel:DWORD dst_unused:UNUSED_PAD src0_sel:WORD_0 src1_sel:DWORD
	v_lshrrev_b32_e32 v50, 19, v28
	v_mul_lo_u16_e32 v28, 45, v50
	v_sub_u16_e32 v52, v56, v28
	v_lshlrev_b32_e32 v28, 6, v52
	global_load_dwordx4 v[94:97], v28, s[8:9] offset:672
	global_load_dwordx4 v[98:101], v26, s[8:9] offset:704
	;; [unrolled: 1-line block ×7, first 2 shown]
	ds_read2_b64 v[26:29], v59 offset0:42 offset1:177
	ds_read2_b64 v[36:39], v64 offset0:84 offset1:219
	v_lshlrev_b32_sdwa v68, v68, v70 dst_sel:DWORD dst_unused:UNUSED_PAD src0_sel:DWORD src1_sel:BYTE_0
	v_mul_u32_u24_e32 v53, 0x708, v53
	v_lshlrev_b32_e32 v51, 3, v51
	s_waitcnt vmcnt(11) lgkmcnt(1)
	v_mul_f64 v[30:31], v[26:27], v[14:15]
	v_mul_f64 v[14:15], v[78:79], v[14:15]
	s_waitcnt vmcnt(10)
	v_mul_f64 v[42:43], v[28:29], v[20:21]
	v_mul_f64 v[20:21], v[80:81], v[20:21]
	v_fma_f64 v[48:49], v[78:79], v[12:13], -v[30:31]
	v_fma_f64 v[40:41], v[26:27], v[12:13], v[14:15]
	s_waitcnt vmcnt(9) lgkmcnt(0)
	v_mul_f64 v[12:13], v[36:37], v[24:25]
	v_mul_f64 v[14:15], v[82:83], v[24:25]
	ds_read2_b64 v[24:27], v58 offset0:28 offset1:163
	v_fma_f64 v[30:31], v[80:81], v[18:19], -v[42:43]
	v_fma_f64 v[28:29], v[28:29], v[18:19], v[20:21]
	s_waitcnt vmcnt(8)
	v_mul_f64 v[18:19], v[38:39], v[34:35]
	v_mul_f64 v[20:21], v[84:85], v[34:35]
	s_waitcnt vmcnt(7) lgkmcnt(0)
	v_mul_f64 v[34:35], v[24:25], v[92:93]
	v_fma_f64 v[122:123], v[82:83], v[22:23], -v[12:13]
	v_fma_f64 v[44:45], v[36:37], v[22:23], v[14:15]
	v_mul_f64 v[12:13], v[86:87], v[92:93]
	s_waitcnt vmcnt(6)
	v_mul_f64 v[14:15], v[26:27], v[96:97]
	ds_read2_b64 v[75:78], v66 offset0:56 offset1:191
	v_fma_f64 v[36:37], v[84:85], v[32:33], -v[18:19]
	v_fma_f64 v[18:19], v[38:39], v[32:33], v[20:21]
	v_fma_f64 v[38:39], v[86:87], v[90:91], -v[34:35]
	v_mul_f64 v[20:21], v[88:89], v[96:97]
	s_waitcnt vmcnt(5) lgkmcnt(0)
	v_mul_f64 v[34:35], v[77:78], v[100:101]
	v_fma_f64 v[32:33], v[24:25], v[90:91], v[12:13]
	v_fma_f64 v[22:23], v[88:89], v[94:95], -v[14:15]
	ds_read2_b64 v[12:15], v61 offset0:14 offset1:149
	ds_read2_b64 v[79:82], v55 offset0:70 offset1:205
	v_mul_f64 v[24:25], v[73:74], v[100:101]
	s_waitcnt vmcnt(4)
	v_mul_f64 v[42:43], v[75:76], v[104:105]
	s_waitcnt vmcnt(2)
	v_mul_f64 v[87:88], v[8:9], v[112:113]
	s_waitcnt lgkmcnt(1)
	v_mul_f64 v[83:84], v[14:15], v[108:109]
	v_fma_f64 v[20:21], v[26:27], v[94:95], v[20:21]
	v_fma_f64 v[73:74], v[73:74], v[98:99], -v[34:35]
	v_mul_f64 v[34:35], v[71:72], v[104:105]
	s_waitcnt lgkmcnt(0)
	v_mul_f64 v[85:86], v[79:80], v[112:113]
	v_fma_f64 v[46:47], v[77:78], v[98:99], v[24:25]
	v_fma_f64 v[26:27], v[71:72], v[102:103], -v[42:43]
	v_mul_f64 v[71:72], v[2:3], v[108:109]
	s_waitcnt vmcnt(1)
	v_mul_f64 v[77:78], v[81:82], v[116:117]
	v_fma_f64 v[2:3], v[2:3], v[106:107], -v[83:84]
	v_add_f64 v[91:92], v[122:123], -v[73:74]
	v_fma_f64 v[24:25], v[75:76], v[102:103], v[34:35]
	v_fma_f64 v[42:43], v[8:9], v[110:111], -v[85:86]
	v_fma_f64 v[34:35], v[79:80], v[110:111], v[87:88]
	v_add_f64 v[75:76], v[48:49], v[73:74]
	v_fma_f64 v[83:84], v[14:15], v[106:107], v[71:72]
	v_fma_f64 v[85:86], v[10:11], v[114:115], -v[77:78]
	v_mul_f64 v[10:11], v[10:11], v[116:117]
	v_add_f64 v[79:80], v[2:3], v[122:123]
	ds_read_b64 v[8:9], v54 offset:15120
	v_add_f64 v[14:15], v[4:5], v[2:3]
	s_waitcnt vmcnt(0)
	v_mul_f64 v[77:78], v[16:17], v[120:121]
	v_fma_f64 v[75:76], v[75:76], -0.5, v[4:5]
	v_add_f64 v[87:88], v[83:84], -v[44:45]
	s_waitcnt lgkmcnt(0)
	v_mul_f64 v[71:72], v[8:9], v[120:121]
	v_fma_f64 v[81:82], v[81:82], v[114:115], v[10:11]
	v_add_f64 v[10:11], v[40:41], -v[46:47]
	v_fma_f64 v[4:5], v[79:80], -0.5, v[4:5]
	v_add_f64 v[89:90], v[2:3], -v[48:49]
	v_add_f64 v[14:15], v[14:15], v[48:49]
	v_fma_f64 v[95:96], v[8:9], v[118:119], v[77:78]
	v_add_f64 v[77:78], v[73:74], -v[122:123]
	v_fma_f64 v[93:94], v[16:17], v[118:119], -v[71:72]
	v_fma_f64 v[16:17], v[87:88], s[14:15], v[75:76]
	v_add_f64 v[71:72], v[48:49], -v[2:3]
	v_fma_f64 v[79:80], v[10:11], s[18:19], v[4:5]
	v_fma_f64 v[4:5], v[10:11], s[14:15], v[4:5]
	v_add_f64 v[8:9], v[89:90], v[91:92]
	v_add_f64 v[14:15], v[14:15], v[73:74]
	v_fma_f64 v[75:76], v[87:88], s[18:19], v[75:76]
	v_add3_u32 v103, 0, v53, v68
	v_fma_f64 v[16:17], v[10:11], s[10:11], v[16:17]
	v_add_f64 v[70:71], v[71:72], v[77:78]
	v_fma_f64 v[77:78], v[87:88], s[10:11], v[79:80]
	v_fma_f64 v[4:5], v[87:88], s[16:17], v[4:5]
	v_add_f64 v[87:88], v[30:31], v[42:43]
	v_add_f64 v[89:90], v[14:15], v[122:123]
	v_fma_f64 v[10:11], v[10:11], s[16:17], v[75:76]
	v_add_f64 v[91:92], v[42:43], -v[36:37]
	v_fma_f64 v[79:80], v[8:9], s[12:13], v[16:17]
	ds_read2_b64 v[14:17], v54 offset1:135
	v_fma_f64 v[77:78], v[70:71], s[12:13], v[77:78]
	v_fma_f64 v[4:5], v[70:71], s[12:13], v[4:5]
	v_add_f64 v[70:71], v[38:39], v[36:37]
	s_waitcnt lgkmcnt(0)
	s_barrier
	ds_write2_b64 v103, v[89:90], v[79:80] offset1:45
	v_fma_f64 v[75:76], v[87:88], -0.5, v[6:7]
	v_add_f64 v[79:80], v[6:7], v[38:39]
	v_add_f64 v[87:88], v[32:33], -v[18:19]
	ds_write2_b64 v103, v[77:78], v[4:5] offset0:90 offset1:135
	v_fma_f64 v[4:5], v[70:71], -0.5, v[6:7]
	v_add_f64 v[6:7], v[28:29], -v[34:35]
	v_add_f64 v[70:71], v[38:39], -v[30:31]
	;; [unrolled: 1-line block ×3, first 2 shown]
	v_fma_f64 v[8:9], v[8:9], s[12:13], v[10:11]
	v_add_f64 v[10:11], v[79:80], v[30:31]
	v_fma_f64 v[79:80], v[87:88], s[14:15], v[75:76]
	v_add_f64 v[89:90], v[30:31], -v[38:39]
	v_mul_u32_u24_e32 v53, 0x708, v69
	v_fma_f64 v[97:98], v[6:7], s[18:19], v[4:5]
	v_fma_f64 v[4:5], v[6:7], s[14:15], v[4:5]
	v_add_f64 v[70:71], v[70:71], v[77:78]
	ds_write_b64 v103, v[8:9] offset:1440
	v_add_f64 v[8:9], v[10:11], v[42:43]
	v_fma_f64 v[10:11], v[6:7], s[10:11], v[79:80]
	v_add_f64 v[68:69], v[89:90], v[91:92]
	v_fma_f64 v[75:76], v[87:88], s[18:19], v[75:76]
	v_fma_f64 v[77:78], v[87:88], s[10:11], v[97:98]
	;; [unrolled: 1-line block ×3, first 2 shown]
	v_add_f64 v[79:80], v[26:27], v[85:86]
	v_add3_u32 v104, 0, v53, v51
	v_add_f64 v[8:9], v[8:9], v[36:37]
	v_fma_f64 v[10:11], v[70:71], s[12:13], v[10:11]
	v_add_f64 v[91:92], v[20:21], -v[95:96]
	v_fma_f64 v[6:7], v[6:7], s[16:17], v[75:76]
	v_fma_f64 v[77:78], v[68:69], s[12:13], v[77:78]
	;; [unrolled: 1-line block ×3, first 2 shown]
	v_fma_f64 v[68:69], v[79:80], -0.5, v[0:1]
	v_add_f64 v[75:76], v[0:1], v[22:23]
	v_add_f64 v[79:80], v[22:23], v[93:94]
	ds_write2_b64 v104, v[8:9], v[10:11] offset1:45
	ds_write2_b64 v104, v[77:78], v[4:5] offset0:90 offset1:135
	v_fma_f64 v[4:5], v[70:71], s[12:13], v[6:7]
	v_add_f64 v[8:9], v[24:25], -v[81:82]
	v_add_f64 v[6:7], v[75:76], v[26:27]
	v_fma_f64 v[0:1], v[79:80], -0.5, v[0:1]
	v_add_f64 v[87:88], v[22:23], -v[26:27]
	v_add_f64 v[89:90], v[93:94], -v[85:86]
	v_fma_f64 v[70:71], v[91:92], s[14:15], v[68:69]
	v_add_f64 v[75:76], v[26:27], -v[22:23]
	v_add_f64 v[77:78], v[85:86], -v[93:94]
	ds_write_b64 v104, v[4:5] offset:1440
	v_add_f64 v[4:5], v[6:7], v[85:86]
	v_add_f64 v[6:7], v[40:41], v[46:47]
	v_fma_f64 v[79:80], v[8:9], s[18:19], v[0:1]
	v_fma_f64 v[0:1], v[8:9], s[14:15], v[0:1]
	;; [unrolled: 1-line block ×3, first 2 shown]
	v_add_f64 v[10:11], v[87:88], v[89:90]
	v_fma_f64 v[70:71], v[8:9], s[10:11], v[70:71]
	v_add_f64 v[75:76], v[75:76], v[77:78]
	v_add_f64 v[87:88], v[2:3], -v[122:123]
	v_fma_f64 v[89:90], v[6:7], -0.5, v[14:15]
	v_fma_f64 v[6:7], v[91:92], s[10:11], v[79:80]
	v_fma_f64 v[0:1], v[91:92], s[16:17], v[0:1]
	;; [unrolled: 1-line block ×3, first 2 shown]
	v_add_f64 v[91:92], v[48:49], -v[73:74]
	v_add_f64 v[48:49], v[83:84], -v[40:41]
	v_add_f64 v[68:69], v[44:45], -v[46:47]
	v_add_f64 v[2:3], v[14:15], v[83:84]
	v_add_f64 v[4:5], v[4:5], v[93:94]
	v_fma_f64 v[70:71], v[10:11], s[12:13], v[70:71]
	v_fma_f64 v[6:7], v[75:76], s[12:13], v[6:7]
	;; [unrolled: 1-line block ×5, first 2 shown]
	v_add_f64 v[97:98], v[48:49], v[68:69]
	v_mul_u32_u24_e32 v48, 0x708, v50
	v_lshlrev_b32_e32 v49, 3, v52
	v_add3_u32 v80, 0, v48, v49
	v_add_f64 v[2:3], v[2:3], v[40:41]
	ds_write2_b64 v80, v[4:5], v[70:71] offset1:45
	ds_write2_b64 v80, v[6:7], v[0:1] offset0:90 offset1:135
	ds_write_b64 v80, v[8:9] offset:1440
	v_add_f64 v[4:5], v[83:84], v[44:45]
	v_fma_f64 v[10:11], v[91:92], s[16:17], v[72:73]
	v_add_f64 v[40:41], v[40:41], -v[83:84]
	v_fma_f64 v[83:84], v[87:88], s[14:15], v[89:90]
	v_add_f64 v[89:90], v[28:29], v[34:35]
	s_waitcnt lgkmcnt(0)
	v_add_f64 v[2:3], v[2:3], v[46:47]
	s_barrier
	v_fma_f64 v[14:15], v[4:5], -0.5, v[14:15]
	v_fma_f64 v[99:100], v[97:98], s[12:13], v[10:11]
	v_add_f64 v[36:37], v[38:39], -v[36:37]
	v_add_f64 v[38:39], v[32:33], -v[28:29]
	;; [unrolled: 1-line block ×3, first 2 shown]
	v_add_f64 v[52:53], v[2:3], v[44:45]
	v_add_f64 v[44:45], v[46:47], -v[44:45]
	v_fma_f64 v[46:47], v[91:92], s[14:15], v[14:15]
	v_fma_f64 v[14:15], v[91:92], s[18:19], v[14:15]
	ds_read_b64 v[101:102], v54 offset:15120
	ds_read2_b64 v[8:11], v54 offset1:135
	ds_read2_b64 v[0:3], v58 offset0:28 offset1:163
	ds_read2_b64 v[48:51], v55 offset0:70 offset1:205
	;; [unrolled: 1-line block ×6, first 2 shown]
	s_waitcnt lgkmcnt(0)
	s_barrier
	v_add_f64 v[40:41], v[40:41], v[44:45]
	v_fma_f64 v[44:45], v[87:88], s[16:17], v[46:47]
	v_add_f64 v[46:47], v[32:33], v[18:19]
	ds_write2_b64 v103, v[52:53], v[99:100] offset1:45
	v_fma_f64 v[52:53], v[91:92], s[10:11], v[83:84]
	v_fma_f64 v[14:15], v[87:88], s[10:11], v[14:15]
	v_fma_f64 v[83:84], v[89:90], -0.5, v[16:17]
	v_add_f64 v[87:88], v[18:19], -v[34:35]
	v_add_f64 v[89:90], v[16:17], v[32:33]
	v_fma_f64 v[44:45], v[40:41], s[12:13], v[44:45]
	v_fma_f64 v[16:17], v[46:47], -0.5, v[16:17]
	v_add_f64 v[22:23], v[22:23], -v[93:94]
	v_add_f64 v[26:27], v[26:27], -v[85:86]
	v_fma_f64 v[14:15], v[40:41], s[12:13], v[14:15]
	v_fma_f64 v[40:41], v[36:37], s[18:19], v[83:84]
	v_add_f64 v[38:39], v[38:39], v[87:88]
	v_add_f64 v[42:43], v[89:90], v[28:29]
	v_fma_f64 v[46:47], v[36:37], s[14:15], v[83:84]
	v_add_f64 v[28:29], v[28:29], -v[32:33]
	v_add_f64 v[32:33], v[34:35], -v[18:19]
	v_fma_f64 v[83:84], v[30:31], s[14:15], v[16:17]
	v_fma_f64 v[16:17], v[30:31], s[18:19], v[16:17]
	v_add_f64 v[87:88], v[24:25], v[81:82]
	v_add_f64 v[89:90], v[20:21], v[95:96]
	;; [unrolled: 1-line block ×3, first 2 shown]
	v_fma_f64 v[40:41], v[30:31], s[16:17], v[40:41]
	v_fma_f64 v[30:31], v[30:31], s[10:11], v[46:47]
	v_add_f64 v[28:29], v[28:29], v[32:33]
	v_fma_f64 v[32:33], v[36:37], s[16:17], v[83:84]
	v_fma_f64 v[16:17], v[36:37], s[10:11], v[16:17]
	v_add_f64 v[36:37], v[12:13], v[20:21]
	v_fma_f64 v[42:43], v[87:88], -0.5, v[12:13]
	v_fma_f64 v[12:13], v[89:90], -0.5, v[12:13]
	v_add_f64 v[18:19], v[34:35], v[18:19]
	v_add_f64 v[34:35], v[20:21], -v[24:25]
	v_add_f64 v[46:47], v[95:96], -v[81:82]
	;; [unrolled: 1-line block ×3, first 2 shown]
	v_fma_f64 v[52:53], v[97:98], s[12:13], v[52:53]
	v_add_f64 v[36:37], v[36:37], v[24:25]
	v_fma_f64 v[85:86], v[22:23], s[18:19], v[42:43]
	v_add_f64 v[24:25], v[81:82], -v[95:96]
	v_fma_f64 v[83:84], v[26:27], s[14:15], v[12:13]
	v_fma_f64 v[12:13], v[26:27], s[18:19], v[12:13]
	;; [unrolled: 1-line block ×3, first 2 shown]
	v_add_f64 v[34:35], v[34:35], v[46:47]
	v_fma_f64 v[40:41], v[38:39], s[12:13], v[40:41]
	v_add_f64 v[36:37], v[36:37], v[81:82]
	v_fma_f64 v[46:47], v[26:27], s[16:17], v[85:86]
	;; [unrolled: 2-line block ×3, first 2 shown]
	v_fma_f64 v[12:13], v[22:23], s[10:11], v[12:13]
	v_fma_f64 v[22:23], v[26:27], s[10:11], v[42:43]
	;; [unrolled: 1-line block ×5, first 2 shown]
	v_add_f64 v[28:29], v[36:37], v[95:96]
	v_fma_f64 v[32:33], v[34:35], s[12:13], v[46:47]
	v_fma_f64 v[24:25], v[20:21], s[12:13], v[24:25]
	;; [unrolled: 1-line block ×4, first 2 shown]
	ds_write2_b64 v103, v[44:45], v[14:15] offset0:90 offset1:135
	ds_write_b64 v103, v[52:53] offset:1440
	ds_write2_b64 v104, v[18:19], v[40:41] offset1:45
	ds_write2_b64 v104, v[30:31], v[16:17] offset0:90 offset1:135
	ds_write_b64 v104, v[26:27] offset:1440
	ds_write2_b64 v80, v[28:29], v[32:33] offset1:45
	ds_write2_b64 v80, v[24:25], v[12:13] offset0:90 offset1:135
	ds_write_b64 v80, v[20:21] offset:1440
	v_lshlrev_b32_e32 v28, 1, v60
	v_mov_b32_e32 v29, 0
	v_lshlrev_b64 v[12:13], 4, v[28:29]
	v_mov_b32_e32 v26, s9
	v_add_co_u32_e32 v30, vcc, s8, v12
	v_addc_co_u32_e32 v31, vcc, v26, v13, vcc
	s_movk_i32 s10, 0x5a
	v_add_u32_e32 v16, 0xffffffa6, v60
	v_cmp_gt_u32_e32 vcc, s10, v60
	v_cndmask_b32_e32 v100, v16, v67, vcc
	s_waitcnt lgkmcnt(0)
	s_barrier
	global_load_dwordx4 v[12:15], v[30:31], off offset:3568
	v_lshlrev_b32_e32 v16, 1, v100
	v_mov_b32_e32 v17, v29
	v_lshlrev_b64 v[16:17], 4, v[16:17]
	v_add_u32_e32 v28, 0x5a, v28
	v_add_co_u32_e32 v24, vcc, s8, v16
	v_addc_co_u32_e32 v25, vcc, v26, v17, vcc
	global_load_dwordx4 v[16:19], v[24:25], off offset:3568
	global_load_dwordx4 v[20:23], v[24:25], off offset:3552
	v_lshlrev_b64 v[24:25], 4, v[28:29]
	s_mov_b32 s10, 0x91a3
	v_add_co_u32_e32 v36, vcc, s8, v24
	v_addc_co_u32_e32 v37, vcc, v26, v25, vcc
	global_load_dwordx4 v[24:27], v[36:37], off offset:3552
	global_load_dwordx4 v[32:35], v[36:37], off offset:3568
	v_mul_u32_u24_sdwa v28, v57, s10 dst_sel:DWORD dst_unused:UNUSED_PAD src0_sel:WORD_0 src1_sel:DWORD
	global_load_dwordx4 v[36:39], v[30:31], off offset:3552
	v_lshrrev_b32_e32 v28, 23, v28
	v_mul_lo_u16_e32 v40, 0xe1, v28
	v_sub_u16_e32 v105, v57, v40
	v_lshlrev_b32_e32 v52, 5, v105
	global_load_dwordx4 v[40:43], v52, s[8:9] offset:3568
	global_load_dwordx4 v[44:47], v52, s[8:9] offset:3552
	v_mul_u32_u24_sdwa v52, v65, s10 dst_sel:DWORD dst_unused:UNUSED_PAD src0_sel:WORD_0 src1_sel:DWORD
	v_lshrrev_b32_e32 v52, 23, v52
	v_mul_lo_u16_e32 v52, 0xe1, v52
	v_sub_u16_e32 v106, v65, v52
	v_lshlrev_b32_e32 v52, 5, v106
	global_load_dwordx4 v[80:83], v52, s[8:9] offset:3552
	global_load_dwordx4 v[84:87], v52, s[8:9] offset:3568
	ds_read2_b64 v[88:91], v55 offset0:70 offset1:205
	ds_read2_b64 v[92:95], v59 offset0:42 offset1:177
	s_movk_i32 s10, 0x59
	v_cmp_lt_u32_e32 vcc, s10, v60
	s_movk_i32 s11, 0x3000
	s_movk_i32 s10, 0x2000
	;; [unrolled: 1-line block ×3, first 2 shown]
	s_waitcnt vmcnt(9) lgkmcnt(1)
	v_mul_f64 v[52:53], v[88:89], v[14:15]
	v_mul_f64 v[14:15], v[48:49], v[14:15]
	v_fma_f64 v[48:49], v[48:49], v[12:13], -v[52:53]
	v_fma_f64 v[52:53], v[88:89], v[12:13], v[14:15]
	s_waitcnt vmcnt(8)
	v_mul_f64 v[96:97], v[90:91], v[18:19]
	v_mul_f64 v[18:19], v[50:51], v[18:19]
	ds_read2_b64 v[12:15], v58 offset0:28 offset1:163
	s_waitcnt vmcnt(7) lgkmcnt(1)
	v_mul_f64 v[98:99], v[92:93], v[22:23]
	v_mul_f64 v[22:23], v[68:69], v[22:23]
	s_waitcnt vmcnt(6)
	v_mul_f64 v[88:89], v[94:95], v[26:27]
	v_mul_f64 v[26:27], v[70:71], v[26:27]
	v_fma_f64 v[50:51], v[50:51], v[16:17], -v[96:97]
	v_fma_f64 v[90:91], v[90:91], v[16:17], v[18:19]
	ds_read2_b64 v[16:19], v64 offset0:84 offset1:219
	v_fma_f64 v[68:69], v[68:69], v[20:21], -v[98:99]
	v_fma_f64 v[92:93], v[92:93], v[20:21], v[22:23]
	v_fma_f64 v[70:71], v[70:71], v[24:25], -v[88:89]
	s_waitcnt vmcnt(4) lgkmcnt(1)
	v_mul_f64 v[88:89], v[14:15], v[38:39]
	s_waitcnt lgkmcnt(0)
	v_mul_f64 v[96:97], v[16:17], v[34:35]
	s_waitcnt vmcnt(3)
	v_mul_f64 v[98:99], v[18:19], v[42:43]
	v_mul_f64 v[42:43], v[74:75], v[42:43]
	v_fma_f64 v[24:25], v[94:95], v[24:25], v[26:27]
	ds_read2_b64 v[20:23], v66 offset0:56 offset1:191
	v_mul_f64 v[34:35], v[72:73], v[34:35]
	v_lshl_add_u32 v95, v60, 3, 0
	v_fma_f64 v[26:27], v[2:3], v[36:37], -v[88:89]
	v_mul_f64 v[2:3], v[2:3], v[38:39]
	s_waitcnt vmcnt(2) lgkmcnt(0)
	v_mul_f64 v[103:104], v[20:21], v[46:47]
	v_fma_f64 v[38:39], v[72:73], v[32:33], -v[96:97]
	v_fma_f64 v[72:73], v[74:75], v[40:41], -v[98:99]
	v_fma_f64 v[40:41], v[18:19], v[40:41], v[42:43]
	v_fma_f64 v[34:35], v[16:17], v[32:33], v[34:35]
	ds_read_b64 v[16:17], v54 offset:15120
	v_add_f64 v[18:19], v[26:27], v[48:49]
	v_fma_f64 v[2:3], v[14:15], v[36:37], v[2:3]
	v_fma_f64 v[42:43], v[76:77], v[44:45], -v[103:104]
	v_mul_f64 v[14:15], v[76:77], v[46:47]
	s_waitcnt vmcnt(1)
	v_mul_f64 v[32:33], v[22:23], v[82:83]
	v_mul_f64 v[36:37], v[78:79], v[82:83]
	s_waitcnt vmcnt(0) lgkmcnt(0)
	v_mul_f64 v[46:47], v[16:17], v[86:87]
	v_mul_f64 v[74:75], v[101:102], v[86:87]
	v_add_f64 v[76:77], v[8:9], v[26:27]
	v_fma_f64 v[8:9], v[18:19], -0.5, v[8:9]
	v_add_f64 v[82:83], v[2:3], -v[52:53]
	v_fma_f64 v[44:45], v[20:21], v[44:45], v[14:15]
	v_fma_f64 v[78:79], v[78:79], v[80:81], -v[32:33]
	v_fma_f64 v[22:23], v[22:23], v[80:81], v[36:37]
	v_fma_f64 v[36:37], v[101:102], v[84:85], -v[46:47]
	v_fma_f64 v[46:47], v[16:17], v[84:85], v[74:75]
	v_add_f64 v[32:33], v[76:77], v[48:49]
	v_add_f64 v[76:77], v[68:69], v[50:51]
	v_fma_f64 v[74:75], v[82:83], s[4:5], v[8:9]
	v_add_f64 v[80:81], v[2:3], v[52:53]
	v_add_f64 v[84:85], v[92:93], v[90:91]
	ds_read2_b64 v[14:17], v54 offset1:135
	ds_read2_b64 v[18:21], v61 offset0:14 offset1:149
	s_waitcnt lgkmcnt(0)
	s_barrier
	ds_write2_b64 v54, v[32:33], v[74:75] offset1:225
	v_fma_f64 v[8:9], v[82:83], s[6:7], v[8:9]
	v_fma_f64 v[32:33], v[76:77], -0.5, v[10:11]
	v_add_f64 v[10:11], v[10:11], v[68:69]
	v_add_f64 v[2:3], v[14:15], v[2:3]
	v_fma_f64 v[74:75], v[80:81], -0.5, v[14:15]
	v_add_f64 v[14:15], v[70:71], v[38:39]
	v_fma_f64 v[76:77], v[84:85], -0.5, v[16:17]
	v_add_f64 v[80:81], v[16:17], v[92:93]
	v_add_f64 v[16:17], v[92:93], -v[90:91]
	ds_write_b64 v54, v[8:9] offset:3600
	v_add_f64 v[8:9], v[4:5], v[70:71]
	v_add_f64 v[10:11], v[10:11], v[50:51]
	v_mov_b32_e32 v84, 0x1518
	v_fma_f64 v[4:5], v[14:15], -0.5, v[4:5]
	v_add_f64 v[14:15], v[24:25], -v[34:35]
	v_cndmask_b32_e32 v84, 0, v84, vcc
	v_fma_f64 v[82:83], v[16:17], s[4:5], v[32:33]
	v_fma_f64 v[16:17], v[16:17], s[6:7], v[32:33]
	v_lshlrev_b32_e32 v85, 3, v100
	v_add3_u32 v94, 0, v84, v85
	v_add_f64 v[8:9], v[8:9], v[38:39]
	v_add_u32_e32 v96, 0x1600, v95
	v_fma_f64 v[32:33], v[14:15], s[4:5], v[4:5]
	v_fma_f64 v[4:5], v[14:15], s[6:7], v[4:5]
	ds_write2_b64 v94, v[10:11], v[82:83] offset1:225
	v_add_f64 v[10:11], v[42:43], v[72:73]
	ds_write_b64 v94, v[16:17] offset:3600
	v_add_f64 v[16:17], v[24:25], v[34:35]
	v_add_f64 v[14:15], v[78:79], v[36:37]
	v_add_f64 v[48:49], v[26:27], -v[48:49]
	ds_write2_b64 v96, v[8:9], v[32:33] offset0:16 offset1:241
	v_add_f64 v[8:9], v[44:45], v[40:41]
	ds_write_b64 v95, v[4:5] offset:9360
	v_fma_f64 v[10:11], v[10:11], -0.5, v[6:7]
	v_add_f64 v[6:7], v[6:7], v[42:43]
	v_fma_f64 v[84:85], v[16:17], -0.5, v[18:19]
	v_add_f64 v[16:17], v[44:45], -v[40:41]
	v_add_f64 v[82:83], v[18:19], v[24:25]
	v_add_f64 v[18:19], v[22:23], v[46:47]
	v_fma_f64 v[86:87], v[8:9], -0.5, v[20:21]
	v_add_f64 v[8:9], v[22:23], -v[46:47]
	v_add_f64 v[44:45], v[20:21], v[44:45]
	v_add_f64 v[4:5], v[6:7], v[72:73]
	v_fma_f64 v[6:7], v[14:15], -0.5, v[0:1]
	v_add_f64 v[0:1], v[0:1], v[78:79]
	v_fma_f64 v[14:15], v[16:17], s[4:5], v[10:11]
	v_mul_u32_u24_e32 v20, 0x1518, v28
	v_lshlrev_b32_e32 v21, 3, v105
	v_add3_u32 v28, 0, v20, v21
	v_fma_f64 v[10:11], v[16:17], s[6:7], v[10:11]
	v_add_f64 v[52:53], v[2:3], v[52:53]
	v_fma_f64 v[16:17], v[8:9], s[4:5], v[6:7]
	v_add_f64 v[0:1], v[0:1], v[36:37]
	ds_write2_b64 v28, v[4:5], v[14:15] offset1:225
	v_fma_f64 v[4:5], v[8:9], s[6:7], v[6:7]
	v_add_f64 v[50:51], v[68:69], -v[50:51]
	v_fma_f64 v[68:69], v[48:49], s[6:7], v[74:75]
	v_fma_f64 v[48:49], v[48:49], s[4:5], v[74:75]
	v_add_f64 v[38:39], v[70:71], -v[38:39]
	v_add_f64 v[42:43], v[42:43], -v[72:73]
	v_fma_f64 v[88:89], v[18:19], -0.5, v[12:13]
	v_add_f64 v[92:93], v[12:13], v[22:23]
	v_add_f64 v[36:37], v[78:79], -v[36:37]
	v_lshl_add_u32 v97, v106, 3, 0
	v_add_u32_e32 v98, 0x2a00, v97
	ds_write_b64 v28, v[10:11] offset:3600
	ds_write2_b64 v98, v[0:1], v[16:17] offset0:6 offset1:231
	ds_write_b64 v97, v[4:5] offset:14400
	s_waitcnt lgkmcnt(0)
	s_barrier
	ds_read2_b64 v[0:3], v54 offset1:135
	ds_read_b64 v[32:33], v54 offset:15120
	ds_read2_b64 v[4:7], v58 offset0:28 offset1:163
	ds_read2_b64 v[8:11], v55 offset0:70 offset1:205
	;; [unrolled: 1-line block ×6, first 2 shown]
	v_add_f64 v[74:75], v[80:81], v[90:91]
	v_fma_f64 v[80:81], v[50:51], s[6:7], v[76:77]
	s_waitcnt lgkmcnt(0)
	s_barrier
	ds_write2_b64 v54, v[52:53], v[68:69] offset1:225
	ds_write_b64 v54, v[48:49] offset:3600
	v_fma_f64 v[48:49], v[50:51], s[4:5], v[76:77]
	v_add_f64 v[34:35], v[82:83], v[34:35]
	v_fma_f64 v[50:51], v[38:39], s[6:7], v[84:85]
	v_fma_f64 v[38:39], v[38:39], s[4:5], v[84:85]
	v_add_f64 v[40:41], v[44:45], v[40:41]
	v_fma_f64 v[44:45], v[42:43], s[6:7], v[86:87]
	;; [unrolled: 3-line block ×3, first 2 shown]
	v_fma_f64 v[36:37], v[36:37], s[4:5], v[88:89]
	ds_write2_b64 v94, v[74:75], v[80:81] offset1:225
	ds_write_b64 v94, v[48:49] offset:3600
	ds_write2_b64 v96, v[34:35], v[50:51] offset0:16 offset1:241
	ds_write_b64 v95, v[38:39] offset:9360
	ds_write2_b64 v28, v[40:41], v[44:45] offset1:225
	ds_write_b64 v28, v[42:43] offset:3600
	ds_write2_b64 v98, v[46:47], v[52:53] offset0:6 offset1:231
	ds_write_b64 v97, v[36:37] offset:14400
	s_waitcnt lgkmcnt(0)
	s_barrier
	s_and_saveexec_b64 s[14:15], s[0:1]
	s_cbranch_execz .LBB0_13
; %bb.12:
	v_lshlrev_b32_e32 v28, 1, v65
	v_lshlrev_b64 v[34:35], 4, v[28:29]
	v_mov_b32_e32 v76, s9
	v_add_co_u32_e32 v28, vcc, s8, v34
	v_addc_co_u32_e32 v34, vcc, v76, v35, vcc
	v_add_co_u32_e32 v42, vcc, 0x2a00, v28
	v_addc_co_u32_e32 v43, vcc, 0, v34, vcc
	;; [unrolled: 2-line block ×3, first 2 shown]
	v_lshlrev_b32_e32 v28, 1, v57
	global_load_dwordx4 v[34:37], v[44:45], off offset:2560
	global_load_dwordx4 v[38:41], v[42:43], off offset:16
	v_lshlrev_b64 v[42:43], 4, v[28:29]
	s_movk_i32 s0, 0x5000
	v_add_co_u32_e32 v28, vcc, s8, v42
	v_addc_co_u32_e32 v42, vcc, v76, v43, vcc
	v_add_co_u32_e32 v50, vcc, s12, v28
	v_addc_co_u32_e32 v51, vcc, 0, v42, vcc
	;; [unrolled: 2-line block ×3, first 2 shown]
	global_load_dwordx4 v[42:45], v[52:53], off offset:2560
	global_load_dwordx4 v[46:49], v[50:51], off offset:16
	v_lshlrev_b32_e32 v28, 1, v56
	v_lshlrev_b64 v[50:51], 4, v[28:29]
	s_mov_b32 s1, 0xc22e4507
	v_add_co_u32_e32 v28, vcc, s8, v50
	v_addc_co_u32_e32 v50, vcc, v76, v51, vcc
	v_add_co_u32_e32 v72, vcc, s12, v28
	v_addc_co_u32_e32 v73, vcc, 0, v50, vcc
	;; [unrolled: 2-line block ×3, first 2 shown]
	global_load_dwordx4 v[50:53], v[74:75], off offset:2560
	global_load_dwordx4 v[68:71], v[72:73], off offset:16
	v_lshlrev_b32_e32 v28, 1, v67
	v_lshlrev_b64 v[72:73], 4, v[28:29]
	v_add_co_u32_e32 v28, vcc, s8, v72
	v_addc_co_u32_e32 v67, vcc, v76, v73, vcc
	v_add_co_u32_e32 v80, vcc, s12, v28
	v_addc_co_u32_e32 v81, vcc, 0, v67, vcc
	v_add_co_u32_e32 v82, vcc, s10, v28
	v_addc_co_u32_e32 v83, vcc, 0, v67, vcc
	global_load_dwordx4 v[72:75], v[82:83], off offset:2560
	global_load_dwordx4 v[76:79], v[80:81], off offset:16
	ds_read2_b64 v[80:83], v66 offset0:56 offset1:191
	v_add_co_u32_e32 v66, vcc, s12, v30
	v_addc_co_u32_e32 v67, vcc, 0, v31, vcc
	v_add_co_u32_e32 v30, vcc, s10, v30
	v_addc_co_u32_e32 v31, vcc, 0, v31, vcc
	global_load_dwordx4 v[84:87], v[30:31], off offset:2560
	global_load_dwordx4 v[88:91], v[66:67], off offset:16
	ds_read_b64 v[30:31], v54 offset:15120
	ds_read2_b64 v[92:95], v58 offset0:28 offset1:163
	ds_read2_b64 v[96:99], v64 offset0:84 offset1:219
	ds_read2_b64 v[100:103], v61 offset0:14 offset1:149
	ds_read2_b64 v[104:107], v59 offset0:42 offset1:177
	v_mov_b32_e32 v61, v29
	v_mul_hi_u32 v28, v56, s1
	s_waitcnt vmcnt(9)
	v_mul_f64 v[58:59], v[26:27], v[36:37]
	s_waitcnt vmcnt(8)
	v_mul_f64 v[66:67], v[32:33], v[40:41]
	s_waitcnt lgkmcnt(5)
	v_mul_f64 v[36:37], v[82:83], v[36:37]
	s_waitcnt lgkmcnt(4)
	v_mul_f64 v[40:41], v[30:31], v[40:41]
	v_fma_f64 v[58:59], v[34:35], v[82:83], v[58:59]
	v_fma_f64 v[30:31], v[38:39], v[30:31], v[66:67]
	v_fma_f64 v[26:27], v[26:27], v[34:35], -v[36:37]
	v_fma_f64 v[34:35], v[32:33], v[38:39], -v[40:41]
	s_waitcnt vmcnt(7)
	v_mul_f64 v[108:109], v[80:81], v[44:45]
	s_waitcnt vmcnt(6) lgkmcnt(2)
	v_mul_f64 v[110:111], v[98:99], v[48:49]
	v_mul_f64 v[44:45], v[24:25], v[44:45]
	;; [unrolled: 1-line block ×3, first 2 shown]
	v_fma_f64 v[66:67], v[22:23], v[46:47], -v[110:111]
	v_add_f64 v[22:23], v[26:27], v[34:35]
	s_waitcnt vmcnt(5) lgkmcnt(0)
	v_mul_f64 v[36:37], v[106:107], v[52:53]
	v_mul_f64 v[32:33], v[18:19], v[52:53]
	v_fma_f64 v[52:53], v[24:25], v[42:43], -v[108:109]
	v_add_f64 v[24:25], v[58:59], v[30:31]
	s_waitcnt vmcnt(4)
	v_mul_f64 v[40:41], v[20:21], v[70:71]
	v_fma_f64 v[42:43], v[42:43], v[80:81], v[44:45]
	v_fma_f64 v[44:45], v[46:47], v[98:99], v[48:49]
	v_mul_f64 v[38:39], v[96:97], v[70:71]
	v_add_f64 v[46:47], v[58:59], v[92:93]
	v_fma_f64 v[70:71], v[50:51], v[106:107], v[32:33]
	v_add_f64 v[32:33], v[26:27], -v[34:35]
	v_fma_f64 v[24:25], v[24:25], -0.5, v[92:93]
	v_add_f64 v[48:49], v[58:59], -v[30:31]
	v_fma_f64 v[58:59], v[22:23], -0.5, v[4:5]
	v_add_f64 v[82:83], v[52:53], v[66:67]
	v_add_f64 v[4:5], v[4:5], v[26:27]
	v_fma_f64 v[80:81], v[68:69], v[96:97], v[40:41]
	v_add_f64 v[40:41], v[42:43], v[44:45]
	v_add_f64 v[22:23], v[30:31], v[46:47]
	v_fma_f64 v[26:27], v[32:33], s[4:5], v[24:25]
	v_fma_f64 v[32:33], v[32:33], s[6:7], v[24:25]
	;; [unrolled: 1-line block ×4, first 2 shown]
	v_add_f64 v[48:49], v[42:43], v[102:103]
	v_fma_f64 v[58:59], v[82:83], -0.5, v[14:15]
	v_add_f64 v[42:43], v[42:43], -v[44:45]
	v_fma_f64 v[68:69], v[20:21], v[68:69], -v[38:39]
	v_add_f64 v[20:21], v[4:5], v[34:35]
	v_add_f64 v[4:5], v[14:15], v[52:53]
	v_add_f64 v[46:47], v[52:53], -v[66:67]
	v_fma_f64 v[40:41], v[40:41], -0.5, v[102:103]
	v_fma_f64 v[82:83], v[18:19], v[50:51], -v[36:37]
	v_add_f64 v[18:19], v[70:71], v[80:81]
	v_fma_f64 v[34:35], v[42:43], s[6:7], v[58:59]
	v_fma_f64 v[38:39], v[42:43], s[4:5], v[58:59]
	s_waitcnt vmcnt(2)
	v_mul_f64 v[52:53], v[10:11], v[78:79]
	v_add_f64 v[42:43], v[4:5], v[66:67]
	v_mul_f64 v[4:5], v[16:17], v[74:75]
	v_fma_f64 v[36:37], v[46:47], s[4:5], v[40:41]
	v_fma_f64 v[40:41], v[46:47], s[6:7], v[40:41]
	v_add_f64 v[44:45], v[44:45], v[48:49]
	ds_read2_b64 v[46:49], v55 offset0:70 offset1:205
	v_add_f64 v[14:15], v[82:83], -v[68:69]
	v_fma_f64 v[50:51], v[18:19], -0.5, v[100:101]
	v_add_f64 v[58:59], v[70:71], v[100:101]
	v_add_f64 v[66:67], v[82:83], v[68:69]
	v_mul_f64 v[74:75], v[104:105], v[74:75]
	s_waitcnt lgkmcnt(0)
	v_mul_f64 v[78:79], v[48:49], v[78:79]
	v_fma_f64 v[92:93], v[72:73], v[104:105], v[4:5]
	v_fma_f64 v[96:97], v[76:77], v[48:49], v[52:53]
	;; [unrolled: 1-line block ×4, first 2 shown]
	v_add_f64 v[48:49], v[80:81], v[58:59]
	v_fma_f64 v[4:5], v[66:67], -0.5, v[12:13]
	v_add_f64 v[58:59], v[70:71], -v[80:81]
	v_fma_f64 v[66:67], v[16:17], v[72:73], -v[74:75]
	v_fma_f64 v[10:11], v[10:11], v[76:77], -v[78:79]
	ds_read2_b64 v[50:53], v54 offset1:135
	v_add_f64 v[54:55], v[92:93], v[96:97]
	s_waitcnt vmcnt(1)
	v_mul_f64 v[70:71], v[6:7], v[86:87]
	s_waitcnt vmcnt(0)
	v_mul_f64 v[72:73], v[8:9], v[90:91]
	v_mul_f64 v[74:75], v[94:95], v[86:87]
	;; [unrolled: 1-line block ×3, first 2 shown]
	v_add_f64 v[78:79], v[12:13], v[82:83]
	v_add_f64 v[80:81], v[66:67], -v[10:11]
	v_fma_f64 v[16:17], v[58:59], s[6:7], v[4:5]
	s_waitcnt lgkmcnt(0)
	v_fma_f64 v[54:55], v[54:55], -0.5, v[52:53]
	v_fma_f64 v[70:71], v[84:85], v[94:95], v[70:71]
	v_fma_f64 v[82:83], v[88:89], v[46:47], v[72:73]
	v_fma_f64 v[6:7], v[6:7], v[84:85], -v[74:75]
	v_fma_f64 v[74:75], v[8:9], v[88:89], -v[76:77]
	v_add_f64 v[72:73], v[66:67], v[10:11]
	v_fma_f64 v[12:13], v[58:59], s[4:5], v[4:5]
	v_add_f64 v[46:47], v[78:79], v[68:69]
	v_fma_f64 v[4:5], v[80:81], s[4:5], v[54:55]
	v_fma_f64 v[8:9], v[80:81], s[6:7], v[54:55]
	v_add_f64 v[58:59], v[70:71], v[82:83]
	v_add_f64 v[66:67], v[2:3], v[66:67]
	;; [unrolled: 1-line block ×3, first 2 shown]
	v_fma_f64 v[68:69], v[72:73], -0.5, v[2:3]
	v_add_f64 v[72:73], v[92:93], -v[96:97]
	v_add_f64 v[76:77], v[6:7], -v[74:75]
	v_add_f64 v[78:79], v[70:71], v[50:51]
	v_add_f64 v[70:71], v[70:71], -v[82:83]
	v_fma_f64 v[58:59], v[58:59], -0.5, v[50:51]
	v_add_f64 v[52:53], v[92:93], v[52:53]
	v_fma_f64 v[54:55], v[54:55], -0.5, v[0:1]
	v_add_f64 v[0:1], v[0:1], v[6:7]
	v_fma_f64 v[2:3], v[72:73], s[6:7], v[68:69]
	v_fma_f64 v[6:7], v[72:73], s[4:5], v[68:69]
	v_add_f64 v[50:51], v[66:67], v[10:11]
	v_fma_f64 v[72:73], v[76:77], s[6:7], v[58:59]
	v_fma_f64 v[68:69], v[76:77], s[4:5], v[58:59]
	;; [unrolled: 1-line block ×4, first 2 shown]
	v_add_f64 v[74:75], v[0:1], v[74:75]
	v_mov_b32_e32 v0, s3
	v_add_co_u32_e32 v54, vcc, s2, v62
	v_add_f64 v[76:77], v[82:83], v[78:79]
	v_addc_co_u32_e32 v55, vcc, v0, v63, vcc
	v_lshlrev_b64 v[0:1], 4, v[60:61]
	v_add_f64 v[52:53], v[96:97], v[52:53]
	v_add_co_u32_e32 v0, vcc, v54, v0
	v_addc_co_u32_e32 v1, vcc, v55, v1, vcc
	v_add_co_u32_e32 v10, vcc, s10, v0
	v_addc_co_u32_e32 v11, vcc, 0, v1, vcc
	global_store_dwordx4 v[10:11], v[70:73], off offset:2608
	v_add_co_u32_e32 v10, vcc, s0, v0
	v_addc_co_u32_e32 v11, vcc, 0, v1, vcc
	global_store_dwordx4 v[0:1], v[74:77], off
	global_store_dwordx4 v[10:11], v[66:69], off offset:1120
	global_store_dwordx4 v[0:1], v[50:53], off offset:2160
	v_add_co_u32_e32 v0, vcc, s11, v0
	v_addc_co_u32_e32 v1, vcc, 0, v1, vcc
	global_store_dwordx4 v[0:1], v[6:9], off offset:672
	global_store_dwordx4 v[10:11], v[2:5], off offset:3280
	v_lshrrev_b32_e32 v0, 9, v28
	s_movk_i32 s2, 0x546
	v_mad_u32_u24 v28, v0, s2, v56
	v_lshlrev_b64 v[0:1], 4, v[28:29]
	v_add_co_u32_e32 v0, vcc, v54, v0
	v_addc_co_u32_e32 v1, vcc, v55, v1, vcc
	v_add_co_u32_e32 v2, vcc, s10, v0
	v_addc_co_u32_e32 v3, vcc, 0, v1, vcc
	global_store_dwordx4 v[2:3], v[12:15], off offset:2608
	v_mul_hi_u32 v2, v57, s1
	global_store_dwordx4 v[0:1], v[46:49], off
	v_add_co_u32_e32 v0, vcc, s0, v0
	v_addc_co_u32_e32 v1, vcc, 0, v1, vcc
	global_store_dwordx4 v[0:1], v[16:19], off offset:1120
	v_lshrrev_b32_e32 v0, 9, v2
	v_mad_u32_u24 v28, v0, s2, v57
	v_lshlrev_b64 v[0:1], 4, v[28:29]
	v_add_co_u32_e32 v0, vcc, v54, v0
	v_addc_co_u32_e32 v1, vcc, v55, v1, vcc
	v_add_co_u32_e32 v2, vcc, s10, v0
	v_addc_co_u32_e32 v3, vcc, 0, v1, vcc
	global_store_dwordx4 v[2:3], v[38:41], off offset:2608
	v_mul_hi_u32 v2, v65, s1
	global_store_dwordx4 v[0:1], v[42:45], off
	v_add_co_u32_e32 v0, vcc, s0, v0
	v_addc_co_u32_e32 v1, vcc, 0, v1, vcc
	global_store_dwordx4 v[0:1], v[34:37], off offset:1120
	v_lshrrev_b32_e32 v0, 9, v2
	v_mad_u32_u24 v28, v0, s2, v65
	v_lshlrev_b64 v[0:1], 4, v[28:29]
	v_add_co_u32_e32 v0, vcc, v54, v0
	v_addc_co_u32_e32 v1, vcc, v55, v1, vcc
	v_add_co_u32_e32 v2, vcc, 0x2000, v0
	v_addc_co_u32_e32 v3, vcc, 0, v1, vcc
	global_store_dwordx4 v[0:1], v[20:23], off
	v_add_co_u32_e32 v0, vcc, 0x5000, v0
	v_addc_co_u32_e32 v1, vcc, 0, v1, vcc
	global_store_dwordx4 v[2:3], v[30:33], off offset:2608
	global_store_dwordx4 v[0:1], v[24:27], off offset:1120
.LBB0_13:
	s_endpgm
	.section	.rodata,"a",@progbits
	.p2align	6, 0x0
	.amdhsa_kernel fft_rtc_fwd_len2025_factors_3_3_5_5_3_3_wgs_135_tpt_135_halfLds_dp_ip_CI_unitstride_sbrr_dirReg
		.amdhsa_group_segment_fixed_size 0
		.amdhsa_private_segment_fixed_size 0
		.amdhsa_kernarg_size 88
		.amdhsa_user_sgpr_count 6
		.amdhsa_user_sgpr_private_segment_buffer 1
		.amdhsa_user_sgpr_dispatch_ptr 0
		.amdhsa_user_sgpr_queue_ptr 0
		.amdhsa_user_sgpr_kernarg_segment_ptr 1
		.amdhsa_user_sgpr_dispatch_id 0
		.amdhsa_user_sgpr_flat_scratch_init 0
		.amdhsa_user_sgpr_private_segment_size 0
		.amdhsa_uses_dynamic_stack 0
		.amdhsa_system_sgpr_private_segment_wavefront_offset 0
		.amdhsa_system_sgpr_workgroup_id_x 1
		.amdhsa_system_sgpr_workgroup_id_y 0
		.amdhsa_system_sgpr_workgroup_id_z 0
		.amdhsa_system_sgpr_workgroup_info 0
		.amdhsa_system_vgpr_workitem_id 0
		.amdhsa_next_free_vgpr 124
		.amdhsa_next_free_sgpr 22
		.amdhsa_reserve_vcc 1
		.amdhsa_reserve_flat_scratch 0
		.amdhsa_float_round_mode_32 0
		.amdhsa_float_round_mode_16_64 0
		.amdhsa_float_denorm_mode_32 3
		.amdhsa_float_denorm_mode_16_64 3
		.amdhsa_dx10_clamp 1
		.amdhsa_ieee_mode 1
		.amdhsa_fp16_overflow 0
		.amdhsa_exception_fp_ieee_invalid_op 0
		.amdhsa_exception_fp_denorm_src 0
		.amdhsa_exception_fp_ieee_div_zero 0
		.amdhsa_exception_fp_ieee_overflow 0
		.amdhsa_exception_fp_ieee_underflow 0
		.amdhsa_exception_fp_ieee_inexact 0
		.amdhsa_exception_int_div_zero 0
	.end_amdhsa_kernel
	.text
.Lfunc_end0:
	.size	fft_rtc_fwd_len2025_factors_3_3_5_5_3_3_wgs_135_tpt_135_halfLds_dp_ip_CI_unitstride_sbrr_dirReg, .Lfunc_end0-fft_rtc_fwd_len2025_factors_3_3_5_5_3_3_wgs_135_tpt_135_halfLds_dp_ip_CI_unitstride_sbrr_dirReg
                                        ; -- End function
	.section	.AMDGPU.csdata,"",@progbits
; Kernel info:
; codeLenInByte = 11868
; NumSgprs: 26
; NumVgprs: 124
; ScratchSize: 0
; MemoryBound: 1
; FloatMode: 240
; IeeeMode: 1
; LDSByteSize: 0 bytes/workgroup (compile time only)
; SGPRBlocks: 3
; VGPRBlocks: 30
; NumSGPRsForWavesPerEU: 26
; NumVGPRsForWavesPerEU: 124
; Occupancy: 2
; WaveLimiterHint : 1
; COMPUTE_PGM_RSRC2:SCRATCH_EN: 0
; COMPUTE_PGM_RSRC2:USER_SGPR: 6
; COMPUTE_PGM_RSRC2:TRAP_HANDLER: 0
; COMPUTE_PGM_RSRC2:TGID_X_EN: 1
; COMPUTE_PGM_RSRC2:TGID_Y_EN: 0
; COMPUTE_PGM_RSRC2:TGID_Z_EN: 0
; COMPUTE_PGM_RSRC2:TIDIG_COMP_CNT: 0
	.type	__hip_cuid_8fc0fe876b6f25d2,@object ; @__hip_cuid_8fc0fe876b6f25d2
	.section	.bss,"aw",@nobits
	.globl	__hip_cuid_8fc0fe876b6f25d2
__hip_cuid_8fc0fe876b6f25d2:
	.byte	0                               ; 0x0
	.size	__hip_cuid_8fc0fe876b6f25d2, 1

	.ident	"AMD clang version 19.0.0git (https://github.com/RadeonOpenCompute/llvm-project roc-6.4.0 25133 c7fe45cf4b819c5991fe208aaa96edf142730f1d)"
	.section	".note.GNU-stack","",@progbits
	.addrsig
	.addrsig_sym __hip_cuid_8fc0fe876b6f25d2
	.amdgpu_metadata
---
amdhsa.kernels:
  - .args:
      - .actual_access:  read_only
        .address_space:  global
        .offset:         0
        .size:           8
        .value_kind:     global_buffer
      - .offset:         8
        .size:           8
        .value_kind:     by_value
      - .actual_access:  read_only
        .address_space:  global
        .offset:         16
        .size:           8
        .value_kind:     global_buffer
      - .actual_access:  read_only
        .address_space:  global
        .offset:         24
        .size:           8
        .value_kind:     global_buffer
      - .offset:         32
        .size:           8
        .value_kind:     by_value
      - .actual_access:  read_only
        .address_space:  global
        .offset:         40
        .size:           8
        .value_kind:     global_buffer
      - .actual_access:  read_only
        .address_space:  global
        .offset:         48
        .size:           8
        .value_kind:     global_buffer
      - .offset:         56
        .size:           4
        .value_kind:     by_value
      - .actual_access:  read_only
        .address_space:  global
        .offset:         64
        .size:           8
        .value_kind:     global_buffer
      - .actual_access:  read_only
        .address_space:  global
        .offset:         72
        .size:           8
        .value_kind:     global_buffer
      - .address_space:  global
        .offset:         80
        .size:           8
        .value_kind:     global_buffer
    .group_segment_fixed_size: 0
    .kernarg_segment_align: 8
    .kernarg_segment_size: 88
    .language:       OpenCL C
    .language_version:
      - 2
      - 0
    .max_flat_workgroup_size: 135
    .name:           fft_rtc_fwd_len2025_factors_3_3_5_5_3_3_wgs_135_tpt_135_halfLds_dp_ip_CI_unitstride_sbrr_dirReg
    .private_segment_fixed_size: 0
    .sgpr_count:     26
    .sgpr_spill_count: 0
    .symbol:         fft_rtc_fwd_len2025_factors_3_3_5_5_3_3_wgs_135_tpt_135_halfLds_dp_ip_CI_unitstride_sbrr_dirReg.kd
    .uniform_work_group_size: 1
    .uses_dynamic_stack: false
    .vgpr_count:     124
    .vgpr_spill_count: 0
    .wavefront_size: 64
amdhsa.target:   amdgcn-amd-amdhsa--gfx906
amdhsa.version:
  - 1
  - 2
...

	.end_amdgpu_metadata
